;; amdgpu-corpus repo=ggml-org/llama.cpp kind=compiled arch=gfx1250 opt=O3
	.amdgcn_target "amdgcn-amd-amdhsa--gfx1250"
	.amdhsa_code_object_version 6
	.section	.text._ZL8norm_f32ILi32EEvPKfPfilllf,"axG",@progbits,_ZL8norm_f32ILi32EEvPKfPfilllf,comdat
	.globl	_ZL8norm_f32ILi32EEvPKfPfilllf  ; -- Begin function _ZL8norm_f32ILi32EEvPKfPfilllf
	.p2align	8
	.type	_ZL8norm_f32ILi32EEvPKfPfilllf,@function
_ZL8norm_f32ILi32EEvPKfPfilllf:         ; @_ZL8norm_f32ILi32EEvPKfPfilllf
; %bb.0:
	s_clause 0x4
	s_load_b128 s[4:7], s[0:1], 0x0
	s_load_b32 s3, s[0:1], 0x10
	s_load_b128 s[8:11], s[0:1], 0x18
	s_load_b64 s[20:21], s[0:1], 0x28
	s_load_b64 s[12:13], s[0:1], 0x38
	s_bfe_u32 s2, ttmp6, 0x40014
	s_lshr_b32 s15, ttmp7, 16
	s_add_co_i32 s2, s2, 1
	s_bfe_u32 s16, ttmp6, 0x40010
	s_mul_i32 s2, s15, s2
	s_bfe_u32 s14, ttmp6, 0x40008
	s_and_b32 s17, ttmp7, 0xffff
	s_add_co_i32 s16, s16, 1
	s_bfe_u32 s18, ttmp6, 0x4000c
	s_add_co_i32 s2, s14, s2
	s_mul_i32 s14, s17, s16
	s_bfe_u32 s16, ttmp6, 0x40004
	s_add_co_i32 s18, s18, 1
	s_add_co_i32 s16, s16, s14
	s_and_b32 s14, ttmp6, 15
	s_mul_i32 s18, ttmp9, s18
	s_getreg_b32 s19, hwreg(HW_REG_IB_STS2, 6, 4)
	v_dual_mov_b32 v5, 0 :: v_dual_lshlrev_b32 v2, 2, v0
	s_add_co_i32 s14, s14, s18
	s_cmp_eq_u32 s19, 0
	s_mov_b32 s19, 0
	s_cselect_b32 s14, ttmp9, s14
	s_wait_kmcnt 0x0
	v_cmp_gt_i32_e32 vcc_lo, s3, v0
	v_mov_b32_e32 v4, v5
	s_cselect_b32 s16, s17, s16
	s_cselect_b32 s18, s15, s2
	s_mov_b32 s17, s19
	s_ashr_i32 s15, s14, 31
	s_mul_u64 s[20:21], s[20:21], s[18:19]
	s_mul_u64 s[10:11], s[10:11], s[16:17]
	s_mul_u64 s[8:9], s[8:9], s[14:15]
	s_and_saveexec_b32 s15, vcc_lo
	s_cbranch_execz .LBB0_4
; %bb.1:
	s_lshl_b64 s[22:23], s[20:21], 2
	s_lshl_b64 s[24:25], s[10:11], 2
	v_dual_mov_b32 v3, 0 :: v_dual_mov_b32 v1, v0
	s_add_nc_u64 s[22:23], s[22:23], s[24:25]
	s_lshl_b64 s[24:25], s[8:9], 2
	s_delay_alu instid0(SALU_CYCLE_1) | instskip(NEXT) | instid1(VALU_DEP_1)
	s_add_nc_u64 s[22:23], s[22:23], s[24:25]
	v_dual_mov_b32 v4, v3 :: v_dual_mov_b32 v5, v3
	s_add_nc_u64 s[22:23], s[4:5], s[22:23]
	s_delay_alu instid0(SALU_CYCLE_1)
	v_add_nc_u64_e32 v[6:7], s[22:23], v[2:3]
.LBB0_2:                                ; =>This Inner Loop Header: Depth=1
	global_load_b32 v9, v[6:7], off
	v_add_nc_u32_e32 v1, 32, v1
	s_wait_xcnt 0x0
	v_add_nc_u64_e32 v[6:7], 0x80, v[6:7]
	s_delay_alu instid0(VALU_DEP_2) | instskip(SKIP_3) | instid1(VALU_DEP_1)
	v_cmp_le_i32_e64 s2, s3, v1
	s_or_b32 s19, s2, s19
	s_wait_loadcnt 0x0
	v_mul_f32_e32 v8, v9, v9
	v_pk_add_f32 v[4:5], v[4:5], v[8:9]
	s_and_not1_b32 exec_lo, exec_lo, s19
	s_cbranch_execnz .LBB0_2
; %bb.3:
	s_or_b32 exec_lo, exec_lo, s19
.LBB0_4:
	s_delay_alu instid0(SALU_CYCLE_1) | instskip(SKIP_2) | instid1(VALU_DEP_1)
	s_or_b32 exec_lo, exec_lo, s15
	v_mbcnt_lo_u32_b32 v1, -1, 0
	s_mov_b32 s15, 0
	v_xor_b32_e32 v3, 16, v1
	s_delay_alu instid0(VALU_DEP_1) | instskip(NEXT) | instid1(VALU_DEP_1)
	v_cmp_gt_i32_e64 s2, 32, v3
	v_cndmask_b32_e64 v3, v1, v3, s2
	s_delay_alu instid0(VALU_DEP_1) | instskip(SKIP_3) | instid1(VALU_DEP_1)
	v_lshlrev_b32_e32 v3, 2, v3
	ds_bpermute_b32 v7, v3, v5
	ds_bpermute_b32 v6, v3, v4
	v_xor_b32_e32 v3, 8, v1
	v_cmp_gt_i32_e64 s2, 32, v3
	s_delay_alu instid0(VALU_DEP_1) | instskip(NEXT) | instid1(VALU_DEP_1)
	v_cndmask_b32_e64 v3, v1, v3, s2
	v_lshlrev_b32_e32 v3, 2, v3
	s_wait_dscnt 0x0
	v_pk_add_f32 v[4:5], v[4:5], v[6:7]
	ds_bpermute_b32 v7, v3, v5
	ds_bpermute_b32 v6, v3, v4
	v_xor_b32_e32 v3, 4, v1
	s_delay_alu instid0(VALU_DEP_1) | instskip(NEXT) | instid1(VALU_DEP_1)
	v_cmp_gt_i32_e64 s2, 32, v3
	v_cndmask_b32_e64 v3, v1, v3, s2
	s_delay_alu instid0(VALU_DEP_1)
	v_lshlrev_b32_e32 v3, 2, v3
	s_wait_dscnt 0x0
	v_pk_add_f32 v[4:5], v[4:5], v[6:7]
	ds_bpermute_b32 v7, v3, v5
	ds_bpermute_b32 v6, v3, v4
	v_xor_b32_e32 v3, 2, v1
	s_delay_alu instid0(VALU_DEP_1) | instskip(NEXT) | instid1(VALU_DEP_1)
	v_cmp_gt_i32_e64 s2, 32, v3
	v_cndmask_b32_e64 v3, v1, v3, s2
	s_delay_alu instid0(VALU_DEP_1)
	v_lshlrev_b32_e32 v3, 2, v3
	s_wait_dscnt 0x0
	v_pk_add_f32 v[4:5], v[4:5], v[6:7]
	ds_bpermute_b32 v7, v3, v5
	ds_bpermute_b32 v6, v3, v4
	v_xor_b32_e32 v3, 1, v1
	s_delay_alu instid0(VALU_DEP_1) | instskip(NEXT) | instid1(VALU_DEP_1)
	v_cmp_gt_i32_e64 s2, 32, v3
	v_cndmask_b32_e64 v1, v1, v3, s2
	s_delay_alu instid0(VALU_DEP_1)
	v_lshlrev_b32_e32 v1, 2, v1
	s_wait_dscnt 0x0
	v_pk_add_f32 v[4:5], v[4:5], v[6:7]
	ds_bpermute_b32 v7, v1, v5
	ds_bpermute_b32 v6, v1, v4
	s_and_saveexec_b32 s2, vcc_lo
	s_cbranch_execz .LBB0_7
; %bb.5:
	s_wait_dscnt 0x0
	v_pk_add_f32 v[4:5], v[4:5], v[6:7]
	s_cvt_f32_i32 s17, s3
	s_load_b32 s0, s[0:1], 0x30
	s_lshl_b64 s[10:11], s[10:11], 2
	s_lshl_b64 s[8:9], s[8:9], 2
	v_div_scale_f32 v1, null, s17, s17, v5
	v_div_scale_f32 v3, null, s17, s17, v4
	v_div_scale_f32 v10, vcc_lo, v5, s17, v5
	s_delay_alu instid0(VALU_DEP_3) | instskip(NEXT) | instid1(VALU_DEP_2)
	v_rcp_f32_e32 v6, v1
	v_rcp_f32_e32 v7, v3
	s_delay_alu instid0(TRANS32_DEP_2) | instskip(NEXT) | instid1(TRANS32_DEP_1)
	v_fma_f32 v8, -v1, v6, 1.0
	v_fma_f32 v9, -v3, v7, 1.0
	s_delay_alu instid0(VALU_DEP_1) | instskip(SKIP_1) | instid1(VALU_DEP_1)
	v_dual_fmac_f32 v6, v8, v6 :: v_dual_fmac_f32 v7, v9, v7
	v_div_scale_f32 v8, s2, v4, s17, v4
	v_dual_mul_f32 v9, v10, v6 :: v_dual_mul_f32 v11, v8, v7
	s_delay_alu instid0(VALU_DEP_1) | instskip(NEXT) | instid1(VALU_DEP_1)
	v_dual_fma_f32 v12, -v1, v9, v10 :: v_dual_fma_f32 v13, -v3, v11, v8
	v_dual_fmac_f32 v9, v12, v6 :: v_dual_fmac_f32 v11, v13, v7
	s_delay_alu instid0(VALU_DEP_1) | instskip(NEXT) | instid1(VALU_DEP_1)
	v_dual_fma_f32 v1, -v1, v9, v10 :: v_dual_fma_f32 v3, -v3, v11, v8
	v_div_fmas_f32 v1, v1, v6, v9
	s_mov_b32 vcc_lo, s2
	s_mul_i32 s2, s13, s18
	s_delay_alu instid0(VALU_DEP_2) | instskip(SKIP_3) | instid1(VALU_DEP_2)
	v_div_fmas_f32 v3, v3, v7, v11
	s_add_co_i32 s2, s2, s16
	v_div_fixup_f32 v1, v1, s17, v5
	s_mul_i32 s2, s2, s12
	v_div_fixup_f32 v3, v3, s17, v4
	s_add_co_i32 s2, s2, s14
	s_delay_alu instid0(SALU_CYCLE_1) | instskip(NEXT) | instid1(VALU_DEP_1)
	s_mul_i32 s12, s2, s3
	v_fma_f32 v3, -v1, v1, v3
	s_ashr_i32 s13, s12, 31
	s_wait_kmcnt 0x0
	s_delay_alu instid0(VALU_DEP_1) | instskip(SKIP_1) | instid1(SALU_CYCLE_1)
	v_add_f32_e32 v3, s0, v3
	s_lshl_b64 s[0:1], s[20:21], 2
	s_add_nc_u64 s[0:1], s[0:1], s[10:11]
	s_delay_alu instid0(VALU_DEP_1)
	v_mul_f32_e32 v4, 0x4b800000, v3
	v_cmp_gt_f32_e32 vcc_lo, 0x800000, v3
	s_add_nc_u64 s[0:1], s[0:1], s[8:9]
	s_lshl_b64 s[8:9], s[12:13], 2
	s_add_nc_u64 s[0:1], s[4:5], s[0:1]
	s_add_nc_u64 s[4:5], s[6:7], s[8:9]
	v_cndmask_b32_e32 v3, v3, v4, vcc_lo
	s_delay_alu instid0(VALU_DEP_1) | instskip(SKIP_2) | instid1(VALU_DEP_1)
	v_rsq_f32_e32 v6, v3
	v_nop
	v_mov_b32_e32 v3, 0
	v_add_nc_u64_e32 v[4:5], s[0:1], v[2:3]
	s_delay_alu instid0(TRANS32_DEP_1) | instskip(SKIP_1) | instid1(VALU_DEP_2)
	v_mul_f32_e32 v7, 0x45800000, v6
	v_add_nc_u64_e32 v[2:3], s[4:5], v[2:3]
	v_cndmask_b32_e32 v6, v6, v7, vcc_lo
.LBB0_6:                                ; =>This Inner Loop Header: Depth=1
	global_load_b32 v7, v[4:5], off
	s_wait_xcnt 0x0
	v_add_nc_u64_e32 v[4:5], 0x80, v[4:5]
	v_add_nc_u32_e32 v0, 32, v0
	s_delay_alu instid0(VALU_DEP_1) | instskip(SKIP_3) | instid1(VALU_DEP_1)
	v_cmp_le_i32_e32 vcc_lo, s3, v0
	s_or_b32 s15, vcc_lo, s15
	s_wait_loadcnt 0x0
	v_sub_f32_e32 v7, v7, v1
	v_mul_f32_e32 v7, v6, v7
	global_store_b32 v[2:3], v7, off
	s_wait_xcnt 0x0
	v_add_nc_u64_e32 v[2:3], 0x80, v[2:3]
	s_and_not1_b32 exec_lo, exec_lo, s15
	s_cbranch_execnz .LBB0_6
.LBB0_7:
	s_endpgm
	.section	.rodata,"a",@progbits
	.p2align	6, 0x0
	.amdhsa_kernel _ZL8norm_f32ILi32EEvPKfPfilllf
		.amdhsa_group_segment_fixed_size 0
		.amdhsa_private_segment_fixed_size 0
		.amdhsa_kernarg_size 312
		.amdhsa_user_sgpr_count 2
		.amdhsa_user_sgpr_dispatch_ptr 0
		.amdhsa_user_sgpr_queue_ptr 0
		.amdhsa_user_sgpr_kernarg_segment_ptr 1
		.amdhsa_user_sgpr_dispatch_id 0
		.amdhsa_user_sgpr_kernarg_preload_length 0
		.amdhsa_user_sgpr_kernarg_preload_offset 0
		.amdhsa_user_sgpr_private_segment_size 0
		.amdhsa_wavefront_size32 1
		.amdhsa_uses_dynamic_stack 0
		.amdhsa_enable_private_segment 0
		.amdhsa_system_sgpr_workgroup_id_x 1
		.amdhsa_system_sgpr_workgroup_id_y 1
		.amdhsa_system_sgpr_workgroup_id_z 1
		.amdhsa_system_sgpr_workgroup_info 0
		.amdhsa_system_vgpr_workitem_id 0
		.amdhsa_next_free_vgpr 14
		.amdhsa_next_free_sgpr 26
		.amdhsa_named_barrier_count 0
		.amdhsa_reserve_vcc 1
		.amdhsa_float_round_mode_32 0
		.amdhsa_float_round_mode_16_64 0
		.amdhsa_float_denorm_mode_32 3
		.amdhsa_float_denorm_mode_16_64 3
		.amdhsa_fp16_overflow 0
		.amdhsa_memory_ordered 1
		.amdhsa_forward_progress 1
		.amdhsa_inst_pref_size 9
		.amdhsa_round_robin_scheduling 0
		.amdhsa_exception_fp_ieee_invalid_op 0
		.amdhsa_exception_fp_denorm_src 0
		.amdhsa_exception_fp_ieee_div_zero 0
		.amdhsa_exception_fp_ieee_overflow 0
		.amdhsa_exception_fp_ieee_underflow 0
		.amdhsa_exception_fp_ieee_inexact 0
		.amdhsa_exception_int_div_zero 0
	.end_amdhsa_kernel
	.section	.text._ZL8norm_f32ILi32EEvPKfPfilllf,"axG",@progbits,_ZL8norm_f32ILi32EEvPKfPfilllf,comdat
.Lfunc_end0:
	.size	_ZL8norm_f32ILi32EEvPKfPfilllf, .Lfunc_end0-_ZL8norm_f32ILi32EEvPKfPfilllf
                                        ; -- End function
	.set _ZL8norm_f32ILi32EEvPKfPfilllf.num_vgpr, 14
	.set _ZL8norm_f32ILi32EEvPKfPfilllf.num_agpr, 0
	.set _ZL8norm_f32ILi32EEvPKfPfilllf.numbered_sgpr, 26
	.set _ZL8norm_f32ILi32EEvPKfPfilllf.num_named_barrier, 0
	.set _ZL8norm_f32ILi32EEvPKfPfilllf.private_seg_size, 0
	.set _ZL8norm_f32ILi32EEvPKfPfilllf.uses_vcc, 1
	.set _ZL8norm_f32ILi32EEvPKfPfilllf.uses_flat_scratch, 0
	.set _ZL8norm_f32ILi32EEvPKfPfilllf.has_dyn_sized_stack, 0
	.set _ZL8norm_f32ILi32EEvPKfPfilllf.has_recursion, 0
	.set _ZL8norm_f32ILi32EEvPKfPfilllf.has_indirect_call, 0
	.section	.AMDGPU.csdata,"",@progbits
; Kernel info:
; codeLenInByte = 1076
; TotalNumSgprs: 28
; NumVgprs: 14
; ScratchSize: 0
; MemoryBound: 0
; FloatMode: 240
; IeeeMode: 1
; LDSByteSize: 0 bytes/workgroup (compile time only)
; SGPRBlocks: 0
; VGPRBlocks: 0
; NumSGPRsForWavesPerEU: 28
; NumVGPRsForWavesPerEU: 14
; NamedBarCnt: 0
; Occupancy: 16
; WaveLimiterHint : 0
; COMPUTE_PGM_RSRC2:SCRATCH_EN: 0
; COMPUTE_PGM_RSRC2:USER_SGPR: 2
; COMPUTE_PGM_RSRC2:TRAP_HANDLER: 0
; COMPUTE_PGM_RSRC2:TGID_X_EN: 1
; COMPUTE_PGM_RSRC2:TGID_Y_EN: 1
; COMPUTE_PGM_RSRC2:TGID_Z_EN: 1
; COMPUTE_PGM_RSRC2:TIDIG_COMP_CNT: 0
	.section	.text._ZL8norm_f32ILi1024EEvPKfPfilllf,"axG",@progbits,_ZL8norm_f32ILi1024EEvPKfPfilllf,comdat
	.globl	_ZL8norm_f32ILi1024EEvPKfPfilllf ; -- Begin function _ZL8norm_f32ILi1024EEvPKfPfilllf
	.p2align	8
	.type	_ZL8norm_f32ILi1024EEvPKfPfilllf,@function
_ZL8norm_f32ILi1024EEvPKfPfilllf:       ; @_ZL8norm_f32ILi1024EEvPKfPfilllf
; %bb.0:
	s_clause 0x4
	s_load_b128 s[4:7], s[0:1], 0x0
	s_load_b32 s3, s[0:1], 0x10
	s_load_b128 s[8:11], s[0:1], 0x18
	s_load_b64 s[20:21], s[0:1], 0x28
	s_load_b64 s[12:13], s[0:1], 0x38
	s_bfe_u32 s2, ttmp6, 0x40014
	s_lshr_b32 s15, ttmp7, 16
	s_add_co_i32 s2, s2, 1
	s_bfe_u32 s16, ttmp6, 0x40010
	s_mul_i32 s2, s15, s2
	s_bfe_u32 s14, ttmp6, 0x40008
	s_and_b32 s17, ttmp7, 0xffff
	s_add_co_i32 s16, s16, 1
	s_bfe_u32 s18, ttmp6, 0x4000c
	s_add_co_i32 s2, s14, s2
	s_mul_i32 s14, s17, s16
	s_bfe_u32 s16, ttmp6, 0x40004
	s_add_co_i32 s18, s18, 1
	s_add_co_i32 s16, s16, s14
	s_and_b32 s14, ttmp6, 15
	s_mul_i32 s18, ttmp9, s18
	s_getreg_b32 s19, hwreg(HW_REG_IB_STS2, 6, 4)
	v_dual_mov_b32 v5, 0 :: v_dual_lshlrev_b32 v2, 2, v0
	s_add_co_i32 s14, s14, s18
	s_cmp_eq_u32 s19, 0
	s_mov_b32 s19, 0
	s_cselect_b32 s14, ttmp9, s14
	s_wait_kmcnt 0x0
	v_cmp_gt_i32_e32 vcc_lo, s3, v0
	v_mov_b32_e32 v4, v5
	s_cselect_b32 s16, s17, s16
	s_cselect_b32 s18, s15, s2
	s_mov_b32 s17, s19
	s_ashr_i32 s15, s14, 31
	s_mul_u64 s[20:21], s[20:21], s[18:19]
	s_mul_u64 s[10:11], s[10:11], s[16:17]
	;; [unrolled: 1-line block ×3, first 2 shown]
	s_and_saveexec_b32 s15, vcc_lo
	s_cbranch_execz .LBB1_4
; %bb.1:
	s_lshl_b64 s[22:23], s[20:21], 2
	s_lshl_b64 s[24:25], s[10:11], 2
	v_dual_mov_b32 v3, 0 :: v_dual_mov_b32 v1, v0
	s_add_nc_u64 s[22:23], s[22:23], s[24:25]
	s_lshl_b64 s[24:25], s[8:9], 2
	s_delay_alu instid0(SALU_CYCLE_1) | instskip(NEXT) | instid1(VALU_DEP_1)
	s_add_nc_u64 s[22:23], s[22:23], s[24:25]
	v_dual_mov_b32 v4, v3 :: v_dual_mov_b32 v5, v3
	s_add_nc_u64 s[22:23], s[4:5], s[22:23]
	s_delay_alu instid0(SALU_CYCLE_1)
	v_add_nc_u64_e32 v[6:7], s[22:23], v[2:3]
.LBB1_2:                                ; =>This Inner Loop Header: Depth=1
	global_load_b32 v8, v[6:7], off
	v_add_nc_u32_e32 v1, 0x400, v1
	s_wait_xcnt 0x0
	v_add_nc_u64_e32 v[6:7], 0x1000, v[6:7]
	s_delay_alu instid0(VALU_DEP_2) | instskip(SKIP_3) | instid1(VALU_DEP_1)
	v_cmp_le_i32_e64 s2, s3, v1
	s_or_b32 s19, s2, s19
	s_wait_loadcnt 0x0
	v_mul_f32_e32 v9, v8, v8
	v_pk_add_f32 v[4:5], v[4:5], v[8:9]
	s_and_not1_b32 exec_lo, exec_lo, s19
	s_cbranch_execnz .LBB1_2
; %bb.3:
	s_or_b32 exec_lo, exec_lo, s19
.LBB1_4:
	s_delay_alu instid0(SALU_CYCLE_1) | instskip(SKIP_2) | instid1(VALU_DEP_1)
	s_or_b32 exec_lo, exec_lo, s15
	v_mbcnt_lo_u32_b32 v10, -1, 0
	s_mov_b32 s15, exec_lo
	v_xor_b32_e32 v3, 8, v10
	v_xor_b32_e32 v1, 16, v10
	;; [unrolled: 1-line block ×5, first 2 shown]
	s_delay_alu instid0(VALU_DEP_4) | instskip(NEXT) | instid1(VALU_DEP_1)
	v_cmp_gt_i32_e64 s2, 32, v1
	v_cndmask_b32_e64 v1, v10, v1, s2
	v_cmp_gt_i32_e64 s2, 32, v3
	s_delay_alu instid0(VALU_DEP_1) | instskip(SKIP_1) | instid1(VALU_DEP_2)
	v_cndmask_b32_e64 v3, v10, v3, s2
	v_cmp_gt_i32_e64 s2, 32, v8
	v_dual_lshlrev_b32 v3, 2, v3 :: v_dual_lshlrev_b32 v1, 2, v1
	s_delay_alu instid0(VALU_DEP_2)
	v_cndmask_b32_e64 v8, v10, v8, s2
	v_cmp_gt_i32_e64 s2, 32, v9
	ds_bpermute_b32 v6, v1, v4
	ds_bpermute_b32 v7, v1, v5
	v_dual_lshlrev_b32 v8, 2, v8 :: v_dual_cndmask_b32 v9, v10, v9, s2
	v_cmp_gt_i32_e64 s2, 32, v11
	s_delay_alu instid0(VALU_DEP_1) | instskip(NEXT) | instid1(VALU_DEP_1)
	v_dual_lshlrev_b32 v9, 2, v9 :: v_dual_cndmask_b32 v10, v10, v11, s2
	v_dual_lshlrev_b32 v10, 2, v10 :: v_dual_bitop2_b32 v11, 31, v0 bitop3:0x40
	s_wait_dscnt 0x0
	v_pk_add_f32 v[4:5], v[4:5], v[6:7]
	ds_bpermute_b32 v6, v3, v4
	ds_bpermute_b32 v7, v3, v5
	s_wait_dscnt 0x0
	v_pk_add_f32 v[4:5], v[4:5], v[6:7]
	ds_bpermute_b32 v6, v8, v4
	ds_bpermute_b32 v7, v8, v5
	;; [unrolled: 4-line block ×4, first 2 shown]
	v_cmpx_eq_u32_e32 0, v11
	s_cbranch_execz .LBB1_6
; %bb.5:
	v_lshrrev_b32_e32 v12, 2, v0
	s_wait_dscnt 0x0
	v_pk_add_f32 v[4:5], v[4:5], v[6:7]
	s_delay_alu instid0(VALU_DEP_2)
	v_add_nc_u32_e32 v12, 0, v12
	ds_store_b64 v12, v[4:5]
.LBB1_6:
	s_or_b32 exec_lo, exec_lo, s15
	v_lshl_add_u32 v4, v11, 3, 0
	s_wait_dscnt 0x0
	s_barrier_signal -1
	s_barrier_wait -1
	ds_load_b64 v[4:5], v4
	s_wait_dscnt 0x0
	ds_bpermute_b32 v6, v1, v4
	ds_bpermute_b32 v7, v1, v5
	s_wait_dscnt 0x0
	v_pk_add_f32 v[4:5], v[4:5], v[6:7]
	ds_bpermute_b32 v6, v3, v4
	ds_bpermute_b32 v7, v3, v5
	s_wait_dscnt 0x0
	v_pk_add_f32 v[4:5], v[4:5], v[6:7]
	ds_bpermute_b32 v6, v8, v4
	ds_bpermute_b32 v7, v8, v5
	s_wait_dscnt 0x0
	v_pk_add_f32 v[4:5], v[4:5], v[6:7]
	ds_bpermute_b32 v6, v9, v4
	ds_bpermute_b32 v7, v9, v5
	s_wait_dscnt 0x0
	v_pk_add_f32 v[4:5], v[4:5], v[6:7]
	ds_bpermute_b32 v6, v10, v4
	ds_bpermute_b32 v7, v10, v5
	s_and_saveexec_b32 s2, vcc_lo
	s_cbranch_execz .LBB1_9
; %bb.7:
	s_wait_dscnt 0x0
	v_pk_add_f32 v[4:5], v[4:5], v[6:7]
	s_cvt_f32_i32 s15, s3
	s_load_b32 s0, s[0:1], 0x30
	s_lshl_b64 s[10:11], s[10:11], 2
	s_lshl_b64 s[8:9], s[8:9], 2
	v_div_scale_f32 v1, null, s15, s15, v4
	v_div_scale_f32 v3, null, s15, s15, v5
	v_div_scale_f32 v10, vcc_lo, v4, s15, v4
	s_delay_alu instid0(VALU_DEP_3) | instskip(NEXT) | instid1(VALU_DEP_2)
	v_rcp_f32_e32 v6, v1
	v_rcp_f32_e32 v7, v3
	s_delay_alu instid0(TRANS32_DEP_2) | instskip(NEXT) | instid1(TRANS32_DEP_1)
	v_fma_f32 v8, -v1, v6, 1.0
	v_fma_f32 v9, -v3, v7, 1.0
	s_delay_alu instid0(VALU_DEP_1) | instskip(SKIP_1) | instid1(VALU_DEP_1)
	v_dual_fmac_f32 v6, v8, v6 :: v_dual_fmac_f32 v7, v9, v7
	v_div_scale_f32 v8, s2, v5, s15, v5
	v_dual_mul_f32 v9, v10, v6 :: v_dual_mul_f32 v11, v8, v7
	s_delay_alu instid0(VALU_DEP_1) | instskip(NEXT) | instid1(VALU_DEP_1)
	v_dual_fma_f32 v12, -v1, v9, v10 :: v_dual_fma_f32 v13, -v3, v11, v8
	v_dual_fmac_f32 v9, v12, v6 :: v_dual_fmac_f32 v11, v13, v7
	s_delay_alu instid0(VALU_DEP_1) | instskip(NEXT) | instid1(VALU_DEP_1)
	v_dual_fma_f32 v1, -v1, v9, v10 :: v_dual_fma_f32 v3, -v3, v11, v8
	v_div_fmas_f32 v1, v1, v6, v9
	s_mov_b32 vcc_lo, s2
	s_mul_i32 s2, s13, s18
	s_delay_alu instid0(VALU_DEP_2) | instskip(SKIP_3) | instid1(VALU_DEP_2)
	v_div_fmas_f32 v3, v3, v7, v11
	s_add_co_i32 s2, s2, s16
	v_div_fixup_f32 v1, v1, s15, v4
	s_mul_i32 s2, s2, s12
	v_div_fixup_f32 v3, v3, s15, v5
	s_add_co_i32 s2, s2, s14
	s_delay_alu instid0(SALU_CYCLE_1) | instskip(NEXT) | instid1(VALU_DEP_1)
	s_mul_i32 s12, s2, s3
	v_fma_f32 v3, -v1, v1, v3
	s_ashr_i32 s13, s12, 31
	s_wait_kmcnt 0x0
	s_delay_alu instid0(VALU_DEP_1) | instskip(SKIP_1) | instid1(SALU_CYCLE_1)
	v_add_f32_e32 v3, s0, v3
	s_lshl_b64 s[0:1], s[20:21], 2
	s_add_nc_u64 s[0:1], s[0:1], s[10:11]
	s_delay_alu instid0(VALU_DEP_1)
	v_mul_f32_e32 v4, 0x4b800000, v3
	v_cmp_gt_f32_e32 vcc_lo, 0x800000, v3
	s_add_nc_u64 s[0:1], s[0:1], s[8:9]
	s_lshl_b64 s[8:9], s[12:13], 2
	s_add_nc_u64 s[0:1], s[4:5], s[0:1]
	s_add_nc_u64 s[4:5], s[6:7], s[8:9]
	v_cndmask_b32_e32 v3, v3, v4, vcc_lo
	s_delay_alu instid0(VALU_DEP_1) | instskip(SKIP_2) | instid1(VALU_DEP_1)
	v_rsq_f32_e32 v6, v3
	v_nop
	v_mov_b32_e32 v3, 0
	v_add_nc_u64_e32 v[4:5], s[0:1], v[2:3]
	s_delay_alu instid0(TRANS32_DEP_1) | instskip(SKIP_2) | instid1(VALU_DEP_2)
	v_mul_f32_e32 v7, 0x45800000, v6
	v_add_nc_u64_e32 v[2:3], s[4:5], v[2:3]
	s_mov_b32 s0, 0
	v_cndmask_b32_e32 v6, v6, v7, vcc_lo
.LBB1_8:                                ; =>This Inner Loop Header: Depth=1
	global_load_b32 v7, v[4:5], off
	s_wait_xcnt 0x0
	v_add_nc_u64_e32 v[4:5], 0x1000, v[4:5]
	v_add_nc_u32_e32 v0, 0x400, v0
	s_delay_alu instid0(VALU_DEP_1) | instskip(SKIP_3) | instid1(VALU_DEP_1)
	v_cmp_le_i32_e32 vcc_lo, s3, v0
	s_or_b32 s0, vcc_lo, s0
	s_wait_loadcnt 0x0
	v_sub_f32_e32 v7, v7, v1
	v_mul_f32_e32 v7, v6, v7
	global_store_b32 v[2:3], v7, off
	s_wait_xcnt 0x0
	v_add_nc_u64_e32 v[2:3], 0x1000, v[2:3]
	s_and_not1_b32 exec_lo, exec_lo, s0
	s_cbranch_execnz .LBB1_8
.LBB1_9:
	s_endpgm
	.section	.rodata,"a",@progbits
	.p2align	6, 0x0
	.amdhsa_kernel _ZL8norm_f32ILi1024EEvPKfPfilllf
		.amdhsa_group_segment_fixed_size 0
		.amdhsa_private_segment_fixed_size 0
		.amdhsa_kernarg_size 312
		.amdhsa_user_sgpr_count 2
		.amdhsa_user_sgpr_dispatch_ptr 0
		.amdhsa_user_sgpr_queue_ptr 0
		.amdhsa_user_sgpr_kernarg_segment_ptr 1
		.amdhsa_user_sgpr_dispatch_id 0
		.amdhsa_user_sgpr_kernarg_preload_length 0
		.amdhsa_user_sgpr_kernarg_preload_offset 0
		.amdhsa_user_sgpr_private_segment_size 0
		.amdhsa_wavefront_size32 1
		.amdhsa_uses_dynamic_stack 0
		.amdhsa_enable_private_segment 0
		.amdhsa_system_sgpr_workgroup_id_x 1
		.amdhsa_system_sgpr_workgroup_id_y 1
		.amdhsa_system_sgpr_workgroup_id_z 1
		.amdhsa_system_sgpr_workgroup_info 0
		.amdhsa_system_vgpr_workitem_id 0
		.amdhsa_next_free_vgpr 14
		.amdhsa_next_free_sgpr 26
		.amdhsa_named_barrier_count 0
		.amdhsa_reserve_vcc 1
		.amdhsa_float_round_mode_32 0
		.amdhsa_float_round_mode_16_64 0
		.amdhsa_float_denorm_mode_32 3
		.amdhsa_float_denorm_mode_16_64 3
		.amdhsa_fp16_overflow 0
		.amdhsa_memory_ordered 1
		.amdhsa_forward_progress 1
		.amdhsa_inst_pref_size 11
		.amdhsa_round_robin_scheduling 0
		.amdhsa_exception_fp_ieee_invalid_op 0
		.amdhsa_exception_fp_denorm_src 0
		.amdhsa_exception_fp_ieee_div_zero 0
		.amdhsa_exception_fp_ieee_overflow 0
		.amdhsa_exception_fp_ieee_underflow 0
		.amdhsa_exception_fp_ieee_inexact 0
		.amdhsa_exception_int_div_zero 0
	.end_amdhsa_kernel
	.section	.text._ZL8norm_f32ILi1024EEvPKfPfilllf,"axG",@progbits,_ZL8norm_f32ILi1024EEvPKfPfilllf,comdat
.Lfunc_end1:
	.size	_ZL8norm_f32ILi1024EEvPKfPfilllf, .Lfunc_end1-_ZL8norm_f32ILi1024EEvPKfPfilllf
                                        ; -- End function
	.set _ZL8norm_f32ILi1024EEvPKfPfilllf.num_vgpr, 14
	.set _ZL8norm_f32ILi1024EEvPKfPfilllf.num_agpr, 0
	.set _ZL8norm_f32ILi1024EEvPKfPfilllf.numbered_sgpr, 26
	.set _ZL8norm_f32ILi1024EEvPKfPfilllf.num_named_barrier, 0
	.set _ZL8norm_f32ILi1024EEvPKfPfilllf.private_seg_size, 0
	.set _ZL8norm_f32ILi1024EEvPKfPfilllf.uses_vcc, 1
	.set _ZL8norm_f32ILi1024EEvPKfPfilllf.uses_flat_scratch, 0
	.set _ZL8norm_f32ILi1024EEvPKfPfilllf.has_dyn_sized_stack, 0
	.set _ZL8norm_f32ILi1024EEvPKfPfilllf.has_recursion, 0
	.set _ZL8norm_f32ILi1024EEvPKfPfilllf.has_indirect_call, 0
	.section	.AMDGPU.csdata,"",@progbits
; Kernel info:
; codeLenInByte = 1284
; TotalNumSgprs: 28
; NumVgprs: 14
; ScratchSize: 0
; MemoryBound: 0
; FloatMode: 240
; IeeeMode: 1
; LDSByteSize: 0 bytes/workgroup (compile time only)
; SGPRBlocks: 0
; VGPRBlocks: 0
; NumSGPRsForWavesPerEU: 28
; NumVGPRsForWavesPerEU: 14
; NamedBarCnt: 0
; Occupancy: 16
; WaveLimiterHint : 0
; COMPUTE_PGM_RSRC2:SCRATCH_EN: 0
; COMPUTE_PGM_RSRC2:USER_SGPR: 2
; COMPUTE_PGM_RSRC2:TRAP_HANDLER: 0
; COMPUTE_PGM_RSRC2:TGID_X_EN: 1
; COMPUTE_PGM_RSRC2:TGID_Y_EN: 1
; COMPUTE_PGM_RSRC2:TGID_Z_EN: 1
; COMPUTE_PGM_RSRC2:TIDIG_COMP_CNT: 0
	.section	.text._ZL14group_norm_f32ILi32EEvPKfPfiif,"axG",@progbits,_ZL14group_norm_f32ILi32EEvPKfPfiif,comdat
	.globl	_ZL14group_norm_f32ILi32EEvPKfPfiif ; -- Begin function _ZL14group_norm_f32ILi32EEvPKfPfiif
	.p2align	8
	.type	_ZL14group_norm_f32ILi32EEvPKfPfiif,@function
_ZL14group_norm_f32ILi32EEvPKfPfiif:    ; @_ZL14group_norm_f32ILi32EEvPKfPfiif
; %bb.0:
	s_load_b96 s[8:10], s[0:1], 0x10
	s_bfe_u32 s2, ttmp6, 0x4000c
	s_and_b32 s3, ttmp6, 15
	s_add_co_i32 s2, s2, 1
	s_getreg_b32 s4, hwreg(HW_REG_IB_STS2, 6, 4)
	s_mul_i32 s2, ttmp9, s2
	v_mov_b32_e32 v6, 0
	s_add_co_i32 s3, s3, s2
	s_cmp_eq_u32 s4, 0
	s_load_b128 s[4:7], s[0:1], 0x0
	s_cselect_b32 s2, ttmp9, s3
	s_wait_kmcnt 0x0
	s_mul_i32 s2, s8, s2
	v_cvt_f64_i32_e32 v[2:3], s9
	s_add_co_i32 s3, s2, s8
	s_delay_alu instid0(SALU_CYCLE_1) | instskip(SKIP_1) | instid1(VALU_DEP_1)
	v_cvt_f64_u32_e32 v[4:5], s3
	s_mov_b32 s3, 0
	v_min_num_f64_e32 v[2:3], v[4:5], v[2:3]
	s_delay_alu instid0(VALU_DEP_1) | instskip(SKIP_1) | instid1(VALU_DEP_1)
	v_cvt_i32_f64_e32 v8, v[2:3]
	v_add_nc_u32_e32 v2, s2, v0
	v_ashrrev_i32_e32 v3, 31, v2
	s_delay_alu instid0(VALU_DEP_3)
	v_cmp_lt_i32_e64 s0, v2, v8
	s_and_saveexec_b32 s1, s0
	s_cbranch_execz .LBB2_4
; %bb.1:
	v_lshl_add_u64 v[4:5], v[2:3], 2, s[4:5]
	v_dual_mov_b32 v6, 0 :: v_dual_mov_b32 v1, v2
.LBB2_2:                                ; =>This Inner Loop Header: Depth=1
	global_load_b32 v7, v[4:5], off
	v_add_nc_u32_e32 v1, 32, v1
	s_wait_xcnt 0x0
	v_add_nc_u64_e32 v[4:5], 0x80, v[4:5]
	s_wait_loadcnt 0x0
	v_add_f32_e32 v6, v6, v7
	v_cmp_ge_i32_e32 vcc_lo, v1, v8
	s_or_b32 s3, vcc_lo, s3
	s_delay_alu instid0(SALU_CYCLE_1)
	s_and_not1_b32 exec_lo, exec_lo, s3
	s_cbranch_execnz .LBB2_2
; %bb.3:
	s_or_b32 exec_lo, exec_lo, s3
.LBB2_4:
	s_delay_alu instid0(SALU_CYCLE_1) | instskip(SKIP_3) | instid1(VALU_DEP_1)
	s_or_b32 exec_lo, exec_lo, s1
	v_mbcnt_lo_u32_b32 v4, -1, 0
	s_cvt_f32_i32 s1, s8
	s_mov_b32 s8, 0
	v_dual_mov_b32 v13, 0 :: v_dual_bitop2_b32 v7, 8, v4 bitop3:0x14
	v_xor_b32_e32 v1, 16, v4
	s_delay_alu instid0(VALU_DEP_1) | instskip(SKIP_1) | instid1(VALU_DEP_4)
	v_cmp_gt_i32_e32 vcc_lo, 32, v1
	v_cndmask_b32_e32 v1, v4, v1, vcc_lo
	v_cmp_gt_i32_e32 vcc_lo, 32, v7
	v_cndmask_b32_e32 v7, v4, v7, vcc_lo
	s_delay_alu instid0(VALU_DEP_1)
	v_dual_lshlrev_b32 v9, 2, v7 :: v_dual_lshlrev_b32 v1, 2, v1
	v_xor_b32_e32 v7, 4, v4
	ds_bpermute_b32 v5, v1, v6
	v_cmp_gt_i32_e32 vcc_lo, 32, v7
	s_wait_dscnt 0x0
	v_add_f32_e32 v5, v6, v5
	ds_bpermute_b32 v6, v9, v5
	s_wait_dscnt 0x0
	v_dual_cndmask_b32 v7, v4, v7, vcc_lo :: v_dual_add_f32 v5, v5, v6
	s_delay_alu instid0(VALU_DEP_1) | instskip(SKIP_4) | instid1(VALU_DEP_1)
	v_dual_lshlrev_b32 v10, 2, v7 :: v_dual_bitop2_b32 v7, 2, v4 bitop3:0x14
	ds_bpermute_b32 v6, v10, v5
	v_cmp_gt_i32_e32 vcc_lo, 32, v7
	s_wait_dscnt 0x0
	v_dual_cndmask_b32 v7, v4, v7, vcc_lo :: v_dual_add_f32 v5, v5, v6
	v_dual_lshlrev_b32 v11, 2, v7 :: v_dual_bitop2_b32 v7, 1, v4 bitop3:0x14
	ds_bpermute_b32 v6, v11, v5
	v_cmp_gt_i32_e32 vcc_lo, 32, v7
	s_wait_dscnt 0x0
	v_dual_cndmask_b32 v7, v4, v7 :: v_dual_add_f32 v4, v5, v6
	s_delay_alu instid0(VALU_DEP_1)
	v_lshlrev_b32_e32 v12, 2, v7
	ds_bpermute_b32 v5, v12, v4
	s_and_saveexec_b32 s3, s0
	s_cbranch_execz .LBB2_8
; %bb.5:
	s_wait_dscnt 0x0
	v_add_f32_e32 v14, v4, v5
	s_delay_alu instid0(VALU_DEP_1) | instskip(NEXT) | instid1(VALU_DEP_1)
	v_div_scale_f32 v4, null, s1, s1, v14
	v_rcp_f32_e32 v5, v4
	v_nop
	s_delay_alu instid0(TRANS32_DEP_1) | instskip(NEXT) | instid1(VALU_DEP_1)
	v_fma_f32 v6, -v4, v5, 1.0
	v_fmac_f32_e32 v5, v6, v5
	v_div_scale_f32 v7, vcc_lo, v14, s1, v14
	s_delay_alu instid0(VALU_DEP_1) | instskip(NEXT) | instid1(VALU_DEP_1)
	v_mul_f32_e32 v13, v7, v5
	v_fma_f32 v6, -v4, v13, v7
	s_delay_alu instid0(VALU_DEP_1) | instskip(NEXT) | instid1(VALU_DEP_1)
	v_fmac_f32_e32 v13, v6, v5
	v_fma_f32 v4, -v4, v13, v7
	v_lshlrev_b64_e32 v[6:7], 2, v[2:3]
	s_delay_alu instid0(VALU_DEP_2) | instskip(SKIP_1) | instid1(VALU_DEP_3)
	v_div_fmas_f32 v3, v4, v5, v13
	v_mov_b32_e32 v13, 0
	v_add_nc_u64_e32 v[4:5], s[4:5], v[6:7]
	v_add_nc_u64_e32 v[6:7], s[6:7], v[6:7]
	s_delay_alu instid0(VALU_DEP_4)
	v_div_fixup_f32 v3, v3, s1, v14
	v_mov_b32_e32 v14, v2
.LBB2_6:                                ; =>This Inner Loop Header: Depth=1
	global_load_b32 v15, v[4:5], off
	v_add_nc_u32_e32 v14, 32, v14
	s_wait_xcnt 0x0
	v_add_nc_u64_e32 v[4:5], 0x80, v[4:5]
	s_wait_loadcnt 0x0
	v_sub_f32_e32 v15, v15, v3
	v_cmp_ge_i32_e32 vcc_lo, v14, v8
	global_store_b32 v[6:7], v15, off
	s_wait_xcnt 0x0
	v_add_nc_u64_e32 v[6:7], 0x80, v[6:7]
	v_fmac_f32_e32 v13, v15, v15
	s_or_b32 s8, vcc_lo, s8
	s_delay_alu instid0(SALU_CYCLE_1)
	s_and_not1_b32 exec_lo, exec_lo, s8
	s_cbranch_execnz .LBB2_6
; %bb.7:
	s_or_b32 exec_lo, exec_lo, s8
.LBB2_8:
	s_delay_alu instid0(SALU_CYCLE_1)
	s_or_b32 exec_lo, exec_lo, s3
	ds_bpermute_b32 v1, v1, v13
	s_wait_dscnt 0x0
	v_add_f32_e32 v1, v13, v1
	ds_bpermute_b32 v3, v9, v1
	s_wait_dscnt 0x0
	v_add_f32_e32 v1, v1, v3
	;; [unrolled: 3-line block ×4, first 2 shown]
	ds_bpermute_b32 v3, v12, v1
	s_and_saveexec_b32 s3, s0
	s_cbranch_execz .LBB2_16
; %bb.9:
	s_wait_dscnt 0x0
	v_add_f32_e32 v1, v1, v3
	s_mov_b32 s0, exec_lo
	s_delay_alu instid0(VALU_DEP_1) | instskip(SKIP_1) | instid1(VALU_DEP_2)
	v_div_scale_f32 v3, null, s1, s1, v1
	v_div_scale_f32 v6, vcc_lo, v1, s1, v1
	v_rcp_f32_e32 v4, v3
	v_nop
	s_delay_alu instid0(TRANS32_DEP_1) | instskip(NEXT) | instid1(VALU_DEP_1)
	v_fma_f32 v5, -v3, v4, 1.0
	v_fmac_f32_e32 v4, v5, v4
	s_delay_alu instid0(VALU_DEP_1) | instskip(NEXT) | instid1(VALU_DEP_1)
	v_mul_f32_e32 v5, v6, v4
	v_fma_f32 v7, -v3, v5, v6
	s_delay_alu instid0(VALU_DEP_1) | instskip(NEXT) | instid1(VALU_DEP_1)
	v_fmac_f32_e32 v5, v7, v4
	v_fma_f32 v3, -v3, v5, v6
	s_delay_alu instid0(VALU_DEP_1) | instskip(NEXT) | instid1(VALU_DEP_1)
	v_div_fmas_f32 v3, v3, v4, v5
	v_div_fixup_f32 v1, v3, s1, v1
	s_mov_b32 s1, -1
	s_delay_alu instid0(VALU_DEP_1) | instskip(NEXT) | instid1(VALU_DEP_1)
	v_add_f32_e32 v1, s10, v1
	v_mul_f32_e32 v3, 0x4b800000, v1
	v_cmp_gt_f32_e32 vcc_lo, 0x800000, v1
	s_delay_alu instid0(VALU_DEP_2) | instskip(SKIP_1) | instid1(VALU_DEP_2)
	v_cndmask_b32_e32 v1, v1, v3, vcc_lo
	v_add_max_i32_e64 v3, v2, 32, v8
	v_rsq_f32_e32 v4, v1
	v_nop
	s_delay_alu instid0(VALU_DEP_2) | instskip(NEXT) | instid1(VALU_DEP_1)
	v_xad_u32 v1, s2, -1, v3
	v_sub_nc_u32_e32 v1, v1, v0
	s_delay_alu instid0(TRANS32_DEP_1) | instskip(NEXT) | instid1(VALU_DEP_1)
	v_mul_f32_e32 v3, 0x45800000, v4
	v_cndmask_b32_e32 v0, v4, v3, vcc_lo
	s_delay_alu instid0(VALU_DEP_3)
	v_cmpx_lt_u32_e32 31, v1
	s_cbranch_execz .LBB2_13
; %bb.10:
	v_dual_lshrrev_b32 v1, 5, v1 :: v_dual_add_nc_u32 v3, 32, v2
	s_mov_b32 s1, 0
	s_delay_alu instid0(VALU_DEP_1) | instskip(NEXT) | instid1(VALU_DEP_2)
	v_dual_mov_b32 v1, v0 :: v_dual_add_nc_u32 v6, 1, v1
	v_mov_b64_e32 v[4:5], v[2:3]
	s_delay_alu instid0(VALU_DEP_2) | instskip(NEXT) | instid1(VALU_DEP_1)
	v_and_b32_e32 v7, 0xffffffe, v6
	v_mov_b32_e32 v9, v7
.LBB2_11:                               ; =>This Inner Loop Header: Depth=1
	s_clause 0x1
	global_load_b32 v10, v4, s[6:7] scale_offset
	global_load_b32 v11, v5, s[6:7] scale_offset
	v_add_nc_u32_e32 v9, -2, v9
	s_wait_loadcnt 0x0
	v_pk_mul_f32 v[10:11], v[0:1], v[10:11]
	s_clause 0x1
	global_store_b32 v4, v10, s[6:7] scale_offset
	global_store_b32 v5, v11, s[6:7] scale_offset
	s_wait_xcnt 0x1
	v_add_nc_u32_e32 v4, 64, v4
	v_cmp_eq_u32_e32 vcc_lo, 0, v9
	s_wait_xcnt 0x0
	v_add_nc_u32_e32 v5, 64, v5
	s_or_b32 s1, vcc_lo, s1
	s_delay_alu instid0(SALU_CYCLE_1)
	s_and_not1_b32 exec_lo, exec_lo, s1
	s_cbranch_execnz .LBB2_11
; %bb.12:
	s_or_b32 exec_lo, exec_lo, s1
	v_cmp_ne_u32_e32 vcc_lo, v6, v7
	v_lshl_add_u32 v2, v7, 5, v2
	s_or_not1_b32 s1, vcc_lo, exec_lo
.LBB2_13:
	s_or_b32 exec_lo, exec_lo, s0
	s_delay_alu instid0(SALU_CYCLE_1)
	s_and_b32 exec_lo, exec_lo, s1
	s_cbranch_execz .LBB2_16
; %bb.14:
	v_ashrrev_i32_e32 v3, 31, v2
	s_mov_b32 s0, 0
	s_delay_alu instid0(VALU_DEP_1)
	v_lshl_add_u64 v[4:5], v[2:3], 2, s[6:7]
.LBB2_15:                               ; =>This Inner Loop Header: Depth=1
	global_load_b32 v1, v[4:5], off
	s_wait_loadcnt 0x0
	v_dual_mul_f32 v1, v0, v1 :: v_dual_add_nc_u32 v2, 32, v2
	s_delay_alu instid0(VALU_DEP_1) | instskip(SKIP_4) | instid1(SALU_CYCLE_1)
	v_cmp_ge_i32_e32 vcc_lo, v2, v8
	global_store_b32 v[4:5], v1, off
	s_wait_xcnt 0x0
	v_add_nc_u64_e32 v[4:5], 0x80, v[4:5]
	s_or_b32 s0, vcc_lo, s0
	s_and_not1_b32 exec_lo, exec_lo, s0
	s_cbranch_execnz .LBB2_15
.LBB2_16:
	s_endpgm
	.section	.rodata,"a",@progbits
	.p2align	6, 0x0
	.amdhsa_kernel _ZL14group_norm_f32ILi32EEvPKfPfiif
		.amdhsa_group_segment_fixed_size 0
		.amdhsa_private_segment_fixed_size 0
		.amdhsa_kernarg_size 28
		.amdhsa_user_sgpr_count 2
		.amdhsa_user_sgpr_dispatch_ptr 0
		.amdhsa_user_sgpr_queue_ptr 0
		.amdhsa_user_sgpr_kernarg_segment_ptr 1
		.amdhsa_user_sgpr_dispatch_id 0
		.amdhsa_user_sgpr_kernarg_preload_length 0
		.amdhsa_user_sgpr_kernarg_preload_offset 0
		.amdhsa_user_sgpr_private_segment_size 0
		.amdhsa_wavefront_size32 1
		.amdhsa_uses_dynamic_stack 0
		.amdhsa_enable_private_segment 0
		.amdhsa_system_sgpr_workgroup_id_x 1
		.amdhsa_system_sgpr_workgroup_id_y 0
		.amdhsa_system_sgpr_workgroup_id_z 0
		.amdhsa_system_sgpr_workgroup_info 0
		.amdhsa_system_vgpr_workitem_id 0
		.amdhsa_next_free_vgpr 16
		.amdhsa_next_free_sgpr 11
		.amdhsa_named_barrier_count 0
		.amdhsa_reserve_vcc 1
		.amdhsa_float_round_mode_32 0
		.amdhsa_float_round_mode_16_64 0
		.amdhsa_float_denorm_mode_32 3
		.amdhsa_float_denorm_mode_16_64 3
		.amdhsa_fp16_overflow 0
		.amdhsa_memory_ordered 1
		.amdhsa_forward_progress 1
		.amdhsa_inst_pref_size 10
		.amdhsa_round_robin_scheduling 0
		.amdhsa_exception_fp_ieee_invalid_op 0
		.amdhsa_exception_fp_denorm_src 0
		.amdhsa_exception_fp_ieee_div_zero 0
		.amdhsa_exception_fp_ieee_overflow 0
		.amdhsa_exception_fp_ieee_underflow 0
		.amdhsa_exception_fp_ieee_inexact 0
		.amdhsa_exception_int_div_zero 0
	.end_amdhsa_kernel
	.section	.text._ZL14group_norm_f32ILi32EEvPKfPfiif,"axG",@progbits,_ZL14group_norm_f32ILi32EEvPKfPfiif,comdat
.Lfunc_end2:
	.size	_ZL14group_norm_f32ILi32EEvPKfPfiif, .Lfunc_end2-_ZL14group_norm_f32ILi32EEvPKfPfiif
                                        ; -- End function
	.set _ZL14group_norm_f32ILi32EEvPKfPfiif.num_vgpr, 16
	.set _ZL14group_norm_f32ILi32EEvPKfPfiif.num_agpr, 0
	.set _ZL14group_norm_f32ILi32EEvPKfPfiif.numbered_sgpr, 11
	.set _ZL14group_norm_f32ILi32EEvPKfPfiif.num_named_barrier, 0
	.set _ZL14group_norm_f32ILi32EEvPKfPfiif.private_seg_size, 0
	.set _ZL14group_norm_f32ILi32EEvPKfPfiif.uses_vcc, 1
	.set _ZL14group_norm_f32ILi32EEvPKfPfiif.uses_flat_scratch, 0
	.set _ZL14group_norm_f32ILi32EEvPKfPfiif.has_dyn_sized_stack, 0
	.set _ZL14group_norm_f32ILi32EEvPKfPfiif.has_recursion, 0
	.set _ZL14group_norm_f32ILi32EEvPKfPfiif.has_indirect_call, 0
	.section	.AMDGPU.csdata,"",@progbits
; Kernel info:
; codeLenInByte = 1220
; TotalNumSgprs: 13
; NumVgprs: 16
; ScratchSize: 0
; MemoryBound: 0
; FloatMode: 240
; IeeeMode: 1
; LDSByteSize: 0 bytes/workgroup (compile time only)
; SGPRBlocks: 0
; VGPRBlocks: 0
; NumSGPRsForWavesPerEU: 13
; NumVGPRsForWavesPerEU: 16
; NamedBarCnt: 0
; Occupancy: 16
; WaveLimiterHint : 0
; COMPUTE_PGM_RSRC2:SCRATCH_EN: 0
; COMPUTE_PGM_RSRC2:USER_SGPR: 2
; COMPUTE_PGM_RSRC2:TRAP_HANDLER: 0
; COMPUTE_PGM_RSRC2:TGID_X_EN: 1
; COMPUTE_PGM_RSRC2:TGID_Y_EN: 0
; COMPUTE_PGM_RSRC2:TGID_Z_EN: 0
; COMPUTE_PGM_RSRC2:TIDIG_COMP_CNT: 0
	.section	.text._ZL14group_norm_f32ILi1024EEvPKfPfiif,"axG",@progbits,_ZL14group_norm_f32ILi1024EEvPKfPfiif,comdat
	.globl	_ZL14group_norm_f32ILi1024EEvPKfPfiif ; -- Begin function _ZL14group_norm_f32ILi1024EEvPKfPfiif
	.p2align	8
	.type	_ZL14group_norm_f32ILi1024EEvPKfPfiif,@function
_ZL14group_norm_f32ILi1024EEvPKfPfiif:  ; @_ZL14group_norm_f32ILi1024EEvPKfPfiif
; %bb.0:
	s_load_b96 s[8:10], s[0:1], 0x10
	s_bfe_u32 s2, ttmp6, 0x4000c
	s_and_b32 s3, ttmp6, 15
	s_add_co_i32 s2, s2, 1
	s_getreg_b32 s4, hwreg(HW_REG_IB_STS2, 6, 4)
	s_mul_i32 s2, ttmp9, s2
	v_mov_b32_e32 v6, 0
	s_add_co_i32 s3, s3, s2
	s_cmp_eq_u32 s4, 0
	s_load_b128 s[4:7], s[0:1], 0x0
	s_cselect_b32 s2, ttmp9, s3
	s_wait_kmcnt 0x0
	s_mul_i32 s2, s8, s2
	v_cvt_f64_i32_e32 v[2:3], s9
	s_add_co_i32 s3, s2, s8
	s_delay_alu instid0(SALU_CYCLE_1) | instskip(SKIP_1) | instid1(VALU_DEP_1)
	v_cvt_f64_u32_e32 v[4:5], s3
	s_mov_b32 s3, 0
	v_min_num_f64_e32 v[2:3], v[4:5], v[2:3]
	s_delay_alu instid0(VALU_DEP_1) | instskip(SKIP_1) | instid1(VALU_DEP_1)
	v_cvt_i32_f64_e32 v8, v[2:3]
	v_add_nc_u32_e32 v2, s2, v0
	v_ashrrev_i32_e32 v3, 31, v2
	s_delay_alu instid0(VALU_DEP_3)
	v_cmp_lt_i32_e64 s0, v2, v8
	s_and_saveexec_b32 s1, s0
	s_cbranch_execz .LBB3_4
; %bb.1:
	v_lshl_add_u64 v[4:5], v[2:3], 2, s[4:5]
	v_dual_mov_b32 v6, 0 :: v_dual_mov_b32 v1, v2
.LBB3_2:                                ; =>This Inner Loop Header: Depth=1
	global_load_b32 v7, v[4:5], off
	v_add_nc_u32_e32 v1, 0x400, v1
	s_wait_xcnt 0x0
	v_add_nc_u64_e32 v[4:5], 0x1000, v[4:5]
	s_wait_loadcnt 0x0
	v_add_f32_e32 v6, v6, v7
	v_cmp_ge_i32_e32 vcc_lo, v1, v8
	s_or_b32 s3, vcc_lo, s3
	s_delay_alu instid0(SALU_CYCLE_1)
	s_and_not1_b32 exec_lo, exec_lo, s3
	s_cbranch_execnz .LBB3_2
; %bb.3:
	s_or_b32 exec_lo, exec_lo, s3
.LBB3_4:
	s_delay_alu instid0(SALU_CYCLE_1) | instskip(SKIP_2) | instid1(VALU_DEP_2)
	s_or_b32 exec_lo, exec_lo, s1
	v_mbcnt_lo_u32_b32 v4, -1, 0
	v_lshrrev_b32_e32 v13, 3, v0
	v_xor_b32_e32 v7, 8, v4
	v_xor_b32_e32 v1, 16, v4
	s_delay_alu instid0(VALU_DEP_1) | instskip(SKIP_1) | instid1(VALU_DEP_4)
	v_cmp_gt_i32_e32 vcc_lo, 32, v1
	v_cndmask_b32_e32 v1, v4, v1, vcc_lo
	v_cmp_gt_i32_e32 vcc_lo, 32, v7
	v_cndmask_b32_e32 v7, v4, v7, vcc_lo
	s_delay_alu instid0(VALU_DEP_1)
	v_dual_lshlrev_b32 v9, 2, v7 :: v_dual_lshlrev_b32 v1, 2, v1
	v_xor_b32_e32 v7, 4, v4
	ds_bpermute_b32 v5, v1, v6
	v_cmp_gt_i32_e32 vcc_lo, 32, v7
	s_wait_dscnt 0x0
	v_add_f32_e32 v5, v6, v5
	ds_bpermute_b32 v6, v9, v5
	s_wait_dscnt 0x0
	v_dual_cndmask_b32 v7, v4, v7, vcc_lo :: v_dual_add_f32 v5, v5, v6
	s_delay_alu instid0(VALU_DEP_1) | instskip(SKIP_4) | instid1(VALU_DEP_1)
	v_dual_lshlrev_b32 v10, 2, v7 :: v_dual_bitop2_b32 v7, 2, v4 bitop3:0x14
	ds_bpermute_b32 v6, v10, v5
	v_cmp_gt_i32_e32 vcc_lo, 32, v7
	s_wait_dscnt 0x0
	v_dual_cndmask_b32 v7, v4, v7, vcc_lo :: v_dual_add_f32 v5, v5, v6
	v_dual_lshlrev_b32 v11, 2, v7 :: v_dual_bitop2_b32 v7, 1, v4 bitop3:0x14
	ds_bpermute_b32 v6, v11, v5
	v_cmp_gt_i32_e32 vcc_lo, 32, v7
	s_wait_dscnt 0x0
	v_dual_cndmask_b32 v4, v4, v7 :: v_dual_add_f32 v5, v5, v6
	s_delay_alu instid0(VALU_DEP_1)
	v_lshlrev_b32_e32 v12, 2, v4
	v_and_b32_e32 v4, 31, v0
	ds_bpermute_b32 v6, v12, v5
	v_cmp_eq_u32_e64 s1, 0, v4
	s_and_saveexec_b32 s3, s1
	s_cbranch_execz .LBB3_6
; %bb.5:
	s_wait_dscnt 0x0
	v_dual_add_f32 v5, v5, v6 :: v_dual_add_nc_u32 v6, 0, v13
	ds_store_b32 v6, v5
.LBB3_6:
	s_or_b32 exec_lo, exec_lo, s3
	v_lshl_add_u32 v14, v4, 2, 0
	s_wait_dscnt 0x0
	s_barrier_signal -1
	s_barrier_wait -1
	ds_load_b32 v4, v14
	s_cvt_f32_i32 s3, s8
	v_mov_b32_e32 v15, 0
	s_wait_dscnt 0x0
	ds_bpermute_b32 v5, v1, v4
	s_wait_dscnt 0x0
	v_add_f32_e32 v4, v4, v5
	ds_bpermute_b32 v5, v9, v4
	s_wait_dscnt 0x0
	v_add_f32_e32 v4, v4, v5
	;; [unrolled: 3-line block ×4, first 2 shown]
	ds_bpermute_b32 v5, v12, v4
	s_and_saveexec_b32 s8, s0
	s_cbranch_execz .LBB3_10
; %bb.7:
	s_wait_dscnt 0x0
	v_add_f32_e32 v16, v4, v5
	s_delay_alu instid0(VALU_DEP_1) | instskip(NEXT) | instid1(VALU_DEP_1)
	v_div_scale_f32 v4, null, s3, s3, v16
	v_rcp_f32_e32 v5, v4
	v_nop
	s_delay_alu instid0(TRANS32_DEP_1) | instskip(NEXT) | instid1(VALU_DEP_1)
	v_fma_f32 v6, -v4, v5, 1.0
	v_fmac_f32_e32 v5, v6, v5
	v_div_scale_f32 v7, vcc_lo, v16, s3, v16
	s_delay_alu instid0(VALU_DEP_1) | instskip(NEXT) | instid1(VALU_DEP_1)
	v_mul_f32_e32 v15, v7, v5
	v_fma_f32 v6, -v4, v15, v7
	s_delay_alu instid0(VALU_DEP_1) | instskip(NEXT) | instid1(VALU_DEP_1)
	v_fmac_f32_e32 v15, v6, v5
	v_fma_f32 v4, -v4, v15, v7
	v_lshlrev_b64_e32 v[6:7], 2, v[2:3]
	s_delay_alu instid0(VALU_DEP_2) | instskip(SKIP_1) | instid1(VALU_DEP_3)
	v_div_fmas_f32 v3, v4, v5, v15
	v_mov_b32_e32 v15, 0
	v_add_nc_u64_e32 v[4:5], s[4:5], v[6:7]
	v_add_nc_u64_e32 v[6:7], s[6:7], v[6:7]
	s_delay_alu instid0(VALU_DEP_4)
	v_div_fixup_f32 v3, v3, s3, v16
	v_mov_b32_e32 v16, v2
	s_mov_b32 s4, 0
.LBB3_8:                                ; =>This Inner Loop Header: Depth=1
	global_load_b32 v17, v[4:5], off
	v_add_nc_u32_e32 v16, 0x400, v16
	s_wait_xcnt 0x0
	v_add_nc_u64_e32 v[4:5], 0x1000, v[4:5]
	s_wait_loadcnt 0x0
	v_sub_f32_e32 v17, v17, v3
	v_cmp_ge_i32_e32 vcc_lo, v16, v8
	global_store_b32 v[6:7], v17, off
	s_wait_xcnt 0x0
	v_add_nc_u64_e32 v[6:7], 0x1000, v[6:7]
	v_fmac_f32_e32 v15, v17, v17
	s_or_b32 s4, vcc_lo, s4
	s_delay_alu instid0(SALU_CYCLE_1)
	s_and_not1_b32 exec_lo, exec_lo, s4
	s_cbranch_execnz .LBB3_8
; %bb.9:
	s_or_b32 exec_lo, exec_lo, s4
.LBB3_10:
	s_delay_alu instid0(SALU_CYCLE_1)
	s_or_b32 exec_lo, exec_lo, s8
	ds_bpermute_b32 v3, v1, v15
	s_wait_dscnt 0x0
	v_add_f32_e32 v3, v15, v3
	ds_bpermute_b32 v4, v9, v3
	s_wait_dscnt 0x0
	v_add_f32_e32 v3, v3, v4
	;; [unrolled: 3-line block ×4, first 2 shown]
	ds_bpermute_b32 v4, v12, v3
	s_and_saveexec_b32 s4, s1
	s_cbranch_execz .LBB3_12
; %bb.11:
	s_wait_dscnt 0x0
	v_dual_add_f32 v3, v3, v4 :: v_dual_add_nc_u32 v4, 0, v13
	ds_store_b32 v4, v3
.LBB3_12:
	s_or_b32 exec_lo, exec_lo, s4
	s_wait_storecnt_dscnt 0x0
	s_barrier_signal -1
	s_barrier_wait -1
	ds_load_b32 v3, v14
	s_wait_dscnt 0x0
	ds_bpermute_b32 v1, v1, v3
	s_wait_dscnt 0x0
	v_add_f32_e32 v1, v3, v1
	ds_bpermute_b32 v3, v9, v1
	s_wait_dscnt 0x0
	v_add_f32_e32 v1, v1, v3
	;; [unrolled: 3-line block ×4, first 2 shown]
	ds_bpermute_b32 v3, v12, v1
	s_and_saveexec_b32 s1, s0
	s_cbranch_execz .LBB3_20
; %bb.13:
	s_wait_dscnt 0x0
	v_add_f32_e32 v1, v1, v3
	s_mov_b32 s1, -1
	s_mov_b32 s0, exec_lo
	s_delay_alu instid0(VALU_DEP_1) | instskip(SKIP_1) | instid1(VALU_DEP_2)
	v_div_scale_f32 v3, null, s3, s3, v1
	v_div_scale_f32 v6, vcc_lo, v1, s3, v1
	v_rcp_f32_e32 v4, v3
	v_nop
	s_delay_alu instid0(TRANS32_DEP_1) | instskip(NEXT) | instid1(VALU_DEP_1)
	v_fma_f32 v5, -v3, v4, 1.0
	v_fmac_f32_e32 v4, v5, v4
	s_delay_alu instid0(VALU_DEP_1) | instskip(NEXT) | instid1(VALU_DEP_1)
	v_mul_f32_e32 v5, v6, v4
	v_fma_f32 v7, -v3, v5, v6
	s_delay_alu instid0(VALU_DEP_1) | instskip(NEXT) | instid1(VALU_DEP_1)
	v_fmac_f32_e32 v5, v7, v4
	v_fma_f32 v3, -v3, v5, v6
	s_delay_alu instid0(VALU_DEP_1) | instskip(NEXT) | instid1(VALU_DEP_1)
	v_div_fmas_f32 v3, v3, v4, v5
	v_div_fixup_f32 v1, v3, s3, v1
	s_delay_alu instid0(VALU_DEP_1) | instskip(NEXT) | instid1(VALU_DEP_1)
	v_add_f32_e32 v1, s10, v1
	v_mul_f32_e32 v3, 0x4b800000, v1
	v_cmp_gt_f32_e32 vcc_lo, 0x800000, v1
	s_delay_alu instid0(VALU_DEP_2) | instskip(SKIP_1) | instid1(VALU_DEP_2)
	v_cndmask_b32_e32 v1, v1, v3, vcc_lo
	v_add_max_i32_e64 v3, 0x400, v2, v8
	v_rsq_f32_e32 v4, v1
	v_nop
	s_delay_alu instid0(VALU_DEP_2) | instskip(NEXT) | instid1(VALU_DEP_1)
	v_xad_u32 v1, s2, -1, v3
	v_sub_nc_u32_e32 v1, v1, v0
	s_delay_alu instid0(TRANS32_DEP_1) | instskip(NEXT) | instid1(VALU_DEP_1)
	v_mul_f32_e32 v3, 0x45800000, v4
	v_cndmask_b32_e32 v0, v4, v3, vcc_lo
	s_delay_alu instid0(VALU_DEP_3)
	v_cmpx_lt_u32_e32 0x3ff, v1
	s_cbranch_execz .LBB3_17
; %bb.14:
	v_lshrrev_b32_e32 v1, 10, v1
	v_add_nc_u32_e32 v3, 0x400, v2
	s_mov_b32 s1, 0
	s_delay_alu instid0(VALU_DEP_2) | instskip(NEXT) | instid1(VALU_DEP_2)
	v_dual_mov_b32 v1, v0 :: v_dual_add_nc_u32 v6, 1, v1
	v_mov_b64_e32 v[4:5], v[2:3]
	s_delay_alu instid0(VALU_DEP_2) | instskip(NEXT) | instid1(VALU_DEP_1)
	v_and_b32_e32 v7, 0x7ffffe, v6
	v_mov_b32_e32 v9, v7
.LBB3_15:                               ; =>This Inner Loop Header: Depth=1
	s_clause 0x1
	global_load_b32 v10, v4, s[6:7] scale_offset
	global_load_b32 v11, v5, s[6:7] scale_offset
	v_add_nc_u32_e32 v9, -2, v9
	s_delay_alu instid0(VALU_DEP_1)
	v_cmp_eq_u32_e32 vcc_lo, 0, v9
	s_or_b32 s1, vcc_lo, s1
	s_wait_loadcnt 0x0
	v_pk_mul_f32 v[10:11], v[0:1], v[10:11]
	s_clause 0x1
	global_store_b32 v4, v10, s[6:7] scale_offset
	global_store_b32 v5, v11, s[6:7] scale_offset
	s_wait_xcnt 0x0
	v_add_nc_u32_e32 v5, 0x800, v5
	v_add_nc_u32_e32 v4, 0x800, v4
	s_and_not1_b32 exec_lo, exec_lo, s1
	s_cbranch_execnz .LBB3_15
; %bb.16:
	s_or_b32 exec_lo, exec_lo, s1
	v_cmp_ne_u32_e32 vcc_lo, v6, v7
	v_lshl_add_u32 v2, v7, 10, v2
	s_or_not1_b32 s1, vcc_lo, exec_lo
.LBB3_17:
	s_or_b32 exec_lo, exec_lo, s0
	s_delay_alu instid0(SALU_CYCLE_1)
	s_and_b32 exec_lo, exec_lo, s1
	s_cbranch_execz .LBB3_20
; %bb.18:
	v_ashrrev_i32_e32 v3, 31, v2
	s_mov_b32 s0, 0
	s_delay_alu instid0(VALU_DEP_1)
	v_lshl_add_u64 v[4:5], v[2:3], 2, s[6:7]
.LBB3_19:                               ; =>This Inner Loop Header: Depth=1
	global_load_b32 v1, v[4:5], off
	s_wait_loadcnt 0x0
	v_dual_mul_f32 v1, v0, v1 :: v_dual_add_nc_u32 v2, 0x400, v2
	s_delay_alu instid0(VALU_DEP_1) | instskip(SKIP_4) | instid1(SALU_CYCLE_1)
	v_cmp_ge_i32_e32 vcc_lo, v2, v8
	global_store_b32 v[4:5], v1, off
	s_wait_xcnt 0x0
	v_add_nc_u64_e32 v[4:5], 0x1000, v[4:5]
	s_or_b32 s0, vcc_lo, s0
	s_and_not1_b32 exec_lo, exec_lo, s0
	s_cbranch_execnz .LBB3_19
.LBB3_20:
	s_endpgm
	.section	.rodata,"a",@progbits
	.p2align	6, 0x0
	.amdhsa_kernel _ZL14group_norm_f32ILi1024EEvPKfPfiif
		.amdhsa_group_segment_fixed_size 0
		.amdhsa_private_segment_fixed_size 0
		.amdhsa_kernarg_size 28
		.amdhsa_user_sgpr_count 2
		.amdhsa_user_sgpr_dispatch_ptr 0
		.amdhsa_user_sgpr_queue_ptr 0
		.amdhsa_user_sgpr_kernarg_segment_ptr 1
		.amdhsa_user_sgpr_dispatch_id 0
		.amdhsa_user_sgpr_kernarg_preload_length 0
		.amdhsa_user_sgpr_kernarg_preload_offset 0
		.amdhsa_user_sgpr_private_segment_size 0
		.amdhsa_wavefront_size32 1
		.amdhsa_uses_dynamic_stack 0
		.amdhsa_enable_private_segment 0
		.amdhsa_system_sgpr_workgroup_id_x 1
		.amdhsa_system_sgpr_workgroup_id_y 0
		.amdhsa_system_sgpr_workgroup_id_z 0
		.amdhsa_system_sgpr_workgroup_info 0
		.amdhsa_system_vgpr_workitem_id 0
		.amdhsa_next_free_vgpr 18
		.amdhsa_next_free_sgpr 11
		.amdhsa_named_barrier_count 0
		.amdhsa_reserve_vcc 1
		.amdhsa_float_round_mode_32 0
		.amdhsa_float_round_mode_16_64 0
		.amdhsa_float_denorm_mode_32 3
		.amdhsa_float_denorm_mode_16_64 3
		.amdhsa_fp16_overflow 0
		.amdhsa_memory_ordered 1
		.amdhsa_forward_progress 1
		.amdhsa_inst_pref_size 12
		.amdhsa_round_robin_scheduling 0
		.amdhsa_exception_fp_ieee_invalid_op 0
		.amdhsa_exception_fp_denorm_src 0
		.amdhsa_exception_fp_ieee_div_zero 0
		.amdhsa_exception_fp_ieee_overflow 0
		.amdhsa_exception_fp_ieee_underflow 0
		.amdhsa_exception_fp_ieee_inexact 0
		.amdhsa_exception_int_div_zero 0
	.end_amdhsa_kernel
	.section	.text._ZL14group_norm_f32ILi1024EEvPKfPfiif,"axG",@progbits,_ZL14group_norm_f32ILi1024EEvPKfPfiif,comdat
.Lfunc_end3:
	.size	_ZL14group_norm_f32ILi1024EEvPKfPfiif, .Lfunc_end3-_ZL14group_norm_f32ILi1024EEvPKfPfiif
                                        ; -- End function
	.set _ZL14group_norm_f32ILi1024EEvPKfPfiif.num_vgpr, 18
	.set _ZL14group_norm_f32ILi1024EEvPKfPfiif.num_agpr, 0
	.set _ZL14group_norm_f32ILi1024EEvPKfPfiif.numbered_sgpr, 11
	.set _ZL14group_norm_f32ILi1024EEvPKfPfiif.num_named_barrier, 0
	.set _ZL14group_norm_f32ILi1024EEvPKfPfiif.private_seg_size, 0
	.set _ZL14group_norm_f32ILi1024EEvPKfPfiif.uses_vcc, 1
	.set _ZL14group_norm_f32ILi1024EEvPKfPfiif.uses_flat_scratch, 0
	.set _ZL14group_norm_f32ILi1024EEvPKfPfiif.has_dyn_sized_stack, 0
	.set _ZL14group_norm_f32ILi1024EEvPKfPfiif.has_recursion, 0
	.set _ZL14group_norm_f32ILi1024EEvPKfPfiif.has_indirect_call, 0
	.section	.AMDGPU.csdata,"",@progbits
; Kernel info:
; codeLenInByte = 1520
; TotalNumSgprs: 13
; NumVgprs: 18
; ScratchSize: 0
; MemoryBound: 0
; FloatMode: 240
; IeeeMode: 1
; LDSByteSize: 0 bytes/workgroup (compile time only)
; SGPRBlocks: 0
; VGPRBlocks: 1
; NumSGPRsForWavesPerEU: 13
; NumVGPRsForWavesPerEU: 18
; NamedBarCnt: 0
; Occupancy: 16
; WaveLimiterHint : 0
; COMPUTE_PGM_RSRC2:SCRATCH_EN: 0
; COMPUTE_PGM_RSRC2:USER_SGPR: 2
; COMPUTE_PGM_RSRC2:TRAP_HANDLER: 0
; COMPUTE_PGM_RSRC2:TGID_X_EN: 1
; COMPUTE_PGM_RSRC2:TGID_Y_EN: 0
; COMPUTE_PGM_RSRC2:TGID_Z_EN: 0
; COMPUTE_PGM_RSRC2:TIDIG_COMP_CNT: 0
	.section	.text._ZL12rms_norm_f32ILi256ELb0ELb0EEvPKfPfilllfS1_lll15HIP_vector_typeIjLj3EES4_S4_S4_S1_lllS4_S4_S4_S4_,"axG",@progbits,_ZL12rms_norm_f32ILi256ELb0ELb0EEvPKfPfilllfS1_lll15HIP_vector_typeIjLj3EES4_S4_S4_S1_lllS4_S4_S4_S4_,comdat
	.globl	_ZL12rms_norm_f32ILi256ELb0ELb0EEvPKfPfilllfS1_lll15HIP_vector_typeIjLj3EES4_S4_S4_S1_lllS4_S4_S4_S4_ ; -- Begin function _ZL12rms_norm_f32ILi256ELb0ELb0EEvPKfPfilllfS1_lll15HIP_vector_typeIjLj3EES4_S4_S4_S1_lllS4_S4_S4_S4_
	.p2align	8
	.type	_ZL12rms_norm_f32ILi256ELb0ELb0EEvPKfPfilllfS1_lll15HIP_vector_typeIjLj3EES4_S4_S4_S1_lllS4_S4_S4_S4_,@function
_ZL12rms_norm_f32ILi256ELb0ELb0EEvPKfPfilllfS1_lll15HIP_vector_typeIjLj3EES4_S4_S4_S1_lllS4_S4_S4_S4_: ; @_ZL12rms_norm_f32ILi256ELb0ELb0EEvPKfPfilllfS1_lll15HIP_vector_typeIjLj3EES4_S4_S4_S1_lllS4_S4_S4_S4_
; %bb.0:
	s_clause 0x4
	s_load_b128 s[4:7], s[0:1], 0x0
	s_load_b32 s3, s[0:1], 0x10
	s_load_b128 s[8:11], s[0:1], 0x18
	s_load_b64 s[20:21], s[0:1], 0x28
	s_load_b64 s[12:13], s[0:1], 0xd8
	s_bfe_u32 s2, ttmp6, 0x40014
	s_lshr_b32 s15, ttmp7, 16
	s_add_co_i32 s2, s2, 1
	s_bfe_u32 s16, ttmp6, 0x40010
	s_mul_i32 s2, s15, s2
	s_bfe_u32 s14, ttmp6, 0x40008
	s_and_b32 s17, ttmp7, 0xffff
	s_add_co_i32 s16, s16, 1
	s_bfe_u32 s18, ttmp6, 0x4000c
	s_add_co_i32 s2, s14, s2
	s_mul_i32 s14, s17, s16
	s_bfe_u32 s16, ttmp6, 0x40004
	s_add_co_i32 s18, s18, 1
	s_add_co_i32 s16, s16, s14
	s_and_b32 s14, ttmp6, 15
	s_mul_i32 s18, ttmp9, s18
	s_getreg_b32 s19, hwreg(HW_REG_IB_STS2, 6, 4)
	s_add_co_i32 s14, s14, s18
	s_cmp_eq_u32 s19, 0
	s_mov_b32 s19, 0
	s_cselect_b32 s14, ttmp9, s14
	s_wait_kmcnt 0x0
	v_cmp_gt_i32_e32 vcc_lo, s3, v0
	v_dual_mov_b32 v3, 0 :: v_dual_lshlrev_b32 v2, 2, v0
	s_cselect_b32 s16, s17, s16
	s_cselect_b32 s18, s15, s2
	s_mov_b32 s17, s19
	s_ashr_i32 s15, s14, 31
	s_mul_u64 s[20:21], s[20:21], s[18:19]
	s_mul_u64 s[10:11], s[10:11], s[16:17]
	;; [unrolled: 1-line block ×3, first 2 shown]
	s_and_saveexec_b32 s15, vcc_lo
	s_cbranch_execz .LBB4_4
; %bb.1:
	s_lshl_b64 s[22:23], s[20:21], 2
	s_lshl_b64 s[24:25], s[10:11], 2
	v_dual_mov_b32 v3, 0 :: v_dual_mov_b32 v1, v0
	s_add_nc_u64 s[22:23], s[22:23], s[24:25]
	s_lshl_b64 s[24:25], s[8:9], 2
	s_delay_alu instid0(SALU_CYCLE_1) | instskip(NEXT) | instid1(SALU_CYCLE_1)
	s_add_nc_u64 s[22:23], s[22:23], s[24:25]
	s_add_nc_u64 s[22:23], s[4:5], s[22:23]
	s_delay_alu instid0(SALU_CYCLE_1)
	v_add_nc_u64_e32 v[4:5], s[22:23], v[2:3]
.LBB4_2:                                ; =>This Inner Loop Header: Depth=1
	global_load_b32 v6, v[4:5], off
	v_add_nc_u32_e32 v1, 0x100, v1
	s_wait_xcnt 0x0
	v_add_nc_u64_e32 v[4:5], 0x400, v[4:5]
	s_delay_alu instid0(VALU_DEP_2)
	v_cmp_le_i32_e64 s2, s3, v1
	s_or_b32 s19, s2, s19
	s_wait_loadcnt 0x0
	v_fmac_f32_e32 v3, v6, v6
	s_and_not1_b32 exec_lo, exec_lo, s19
	s_cbranch_execnz .LBB4_2
; %bb.3:
	s_or_b32 exec_lo, exec_lo, s19
.LBB4_4:
	s_delay_alu instid0(SALU_CYCLE_1) | instskip(SKIP_2) | instid1(VALU_DEP_1)
	s_or_b32 exec_lo, exec_lo, s15
	v_mbcnt_lo_u32_b32 v6, -1, 0
	s_mov_b32 s15, exec_lo
	v_xor_b32_e32 v4, 8, v6
	v_xor_b32_e32 v1, 16, v6
	;; [unrolled: 1-line block ×3, first 2 shown]
	s_delay_alu instid0(VALU_DEP_2) | instskip(NEXT) | instid1(VALU_DEP_1)
	v_cmp_gt_i32_e64 s2, 32, v1
	v_cndmask_b32_e64 v1, v6, v1, s2
	v_cmp_gt_i32_e64 s2, 32, v4
	s_delay_alu instid0(VALU_DEP_1) | instskip(NEXT) | instid1(VALU_DEP_1)
	v_cndmask_b32_e64 v4, v6, v4, s2
	v_dual_lshlrev_b32 v4, 2, v4 :: v_dual_lshlrev_b32 v1, 2, v1
	ds_bpermute_b32 v5, v1, v3
	s_wait_dscnt 0x0
	v_dual_add_f32 v5, v3, v5 :: v_dual_bitop2_b32 v3, 4, v6 bitop3:0x14
	ds_bpermute_b32 v7, v4, v5
	v_cmp_gt_i32_e64 s2, 32, v3
	s_delay_alu instid0(VALU_DEP_1) | instskip(SKIP_2) | instid1(VALU_DEP_1)
	v_cndmask_b32_e64 v3, v6, v3, s2
	s_wait_dscnt 0x0
	v_dual_add_f32 v7, v5, v7 :: v_dual_bitop2_b32 v5, 2, v6 bitop3:0x14
	v_cmp_gt_i32_e64 s2, 32, v5
	s_delay_alu instid0(VALU_DEP_1) | instskip(SKIP_1) | instid1(VALU_DEP_2)
	v_dual_lshlrev_b32 v3, 2, v3 :: v_dual_cndmask_b32 v5, v6, v5, s2
	v_cmp_gt_i32_e64 s2, 32, v9
	v_lshlrev_b32_e32 v5, 2, v5
	ds_bpermute_b32 v8, v3, v7
	s_wait_dscnt 0x0
	v_add_f32_e32 v7, v7, v8
	ds_bpermute_b32 v8, v5, v7
	s_wait_dscnt 0x0
	v_dual_cndmask_b32 v6, v6, v9, s2 :: v_dual_add_f32 v8, v7, v8
	s_delay_alu instid0(VALU_DEP_1)
	v_dual_lshlrev_b32 v6, 2, v6 :: v_dual_bitop2_b32 v7, 31, v0 bitop3:0x40
	ds_bpermute_b32 v9, v6, v8
	v_cmpx_eq_u32_e32 0, v7
	s_cbranch_execz .LBB4_6
; %bb.5:
	s_wait_dscnt 0x0
	v_dual_lshrrev_b32 v10, 3, v0 :: v_dual_add_f32 v8, v8, v9
	s_delay_alu instid0(VALU_DEP_1)
	v_add_nc_u32_e32 v9, 0, v10
	ds_store_b32 v9, v8
.LBB4_6:
	s_or_b32 exec_lo, exec_lo, s15
	v_mov_b32_e32 v8, 0
	s_mov_b32 s15, exec_lo
	s_wait_dscnt 0x0
	s_barrier_signal -1
	s_barrier_wait -1
	v_cmpx_gt_u32_e32 8, v7
; %bb.7:
	v_lshl_add_u32 v7, v7, 2, 0
	ds_load_b32 v8, v7
; %bb.8:
	s_or_b32 exec_lo, exec_lo, s15
	s_wait_dscnt 0x0
	ds_bpermute_b32 v1, v1, v8
	s_wait_dscnt 0x0
	v_add_f32_e32 v1, v8, v1
	ds_bpermute_b32 v4, v4, v1
	s_wait_dscnt 0x0
	v_add_f32_e32 v1, v1, v4
	;; [unrolled: 3-line block ×4, first 2 shown]
	ds_bpermute_b32 v3, v6, v1
	s_and_saveexec_b32 s2, vcc_lo
	s_cbranch_execz .LBB4_11
; %bb.9:
	s_wait_dscnt 0x0
	v_add_f32_e32 v1, v1, v3
	s_cvt_f32_i32 s2, s3
	s_load_b32 s0, s[0:1], 0x30
	s_lshl_b64 s[10:11], s[10:11], 2
	s_lshl_b64 s[8:9], s[8:9], 2
	v_div_scale_f32 v3, null, s2, s2, v1
	v_div_scale_f32 v6, vcc_lo, v1, s2, v1
	s_delay_alu instid0(VALU_DEP_2) | instskip(SKIP_1) | instid1(TRANS32_DEP_1)
	v_rcp_f32_e32 v4, v3
	v_nop
	v_fma_f32 v5, -v3, v4, 1.0
	s_delay_alu instid0(VALU_DEP_1) | instskip(NEXT) | instid1(VALU_DEP_1)
	v_fmac_f32_e32 v4, v5, v4
	v_mul_f32_e32 v5, v6, v4
	s_delay_alu instid0(VALU_DEP_1) | instskip(NEXT) | instid1(VALU_DEP_1)
	v_fma_f32 v7, -v3, v5, v6
	v_fmac_f32_e32 v5, v7, v4
	s_delay_alu instid0(VALU_DEP_1) | instskip(NEXT) | instid1(VALU_DEP_1)
	v_fma_f32 v3, -v3, v5, v6
	v_div_fmas_f32 v3, v3, v4, v5
	s_delay_alu instid0(VALU_DEP_1) | instskip(SKIP_1) | instid1(SALU_CYCLE_1)
	v_div_fixup_f32 v1, v3, s2, v1
	s_mul_i32 s2, s13, s18
	s_add_co_i32 s2, s2, s16
	s_delay_alu instid0(SALU_CYCLE_1)
	s_mul_i32 s2, s2, s12
	s_wait_kmcnt 0x0
	v_add_f32_e32 v1, s0, v1
	s_add_co_i32 s2, s2, s14
	s_lshl_b64 s[0:1], s[20:21], 2
	s_mul_i32 s12, s2, s3
	s_add_nc_u64 s[0:1], s[0:1], s[10:11]
	v_mul_f32_e32 v3, 0x4b800000, v1
	v_cmp_gt_f32_e32 vcc_lo, 0x800000, v1
	s_ashr_i32 s13, s12, 31
	s_add_nc_u64 s[0:1], s[0:1], s[8:9]
	s_lshl_b64 s[8:9], s[12:13], 2
	s_add_nc_u64 s[0:1], s[4:5], s[0:1]
	v_dual_cndmask_b32 v1, v1, v3, vcc_lo :: v_dual_mov_b32 v3, 0
	s_add_nc_u64 s[4:5], s[6:7], s[8:9]
	s_delay_alu instid0(VALU_DEP_1) | instskip(NEXT) | instid1(VALU_DEP_1)
	v_rsq_f32_e32 v1, v1
	v_add_nc_u64_e32 v[4:5], s[0:1], v[2:3]
	v_add_nc_u64_e32 v[2:3], s[4:5], v[2:3]
	s_mov_b32 s0, 0
	s_delay_alu instid0(TRANS32_DEP_1) | instskip(NEXT) | instid1(VALU_DEP_1)
	v_mul_f32_e32 v6, 0x45800000, v1
	v_cndmask_b32_e32 v1, v1, v6, vcc_lo
.LBB4_10:                               ; =>This Inner Loop Header: Depth=1
	global_load_b32 v6, v[4:5], off
	v_add_nc_u32_e32 v0, 0x100, v0
	s_wait_xcnt 0x0
	v_add_nc_u64_e32 v[4:5], 0x400, v[4:5]
	s_delay_alu instid0(VALU_DEP_2)
	v_cmp_le_i32_e32 vcc_lo, s3, v0
	s_or_b32 s0, vcc_lo, s0
	s_wait_loadcnt 0x0
	v_mul_f32_e32 v6, v1, v6
	global_store_b32 v[2:3], v6, off
	s_wait_xcnt 0x0
	v_add_nc_u64_e32 v[2:3], 0x400, v[2:3]
	s_and_not1_b32 exec_lo, exec_lo, s0
	s_cbranch_execnz .LBB4_10
.LBB4_11:
	s_endpgm
	.section	.rodata,"a",@progbits
	.p2align	6, 0x0
	.amdhsa_kernel _ZL12rms_norm_f32ILi256ELb0ELb0EEvPKfPfilllfS1_lll15HIP_vector_typeIjLj3EES4_S4_S4_S1_lllS4_S4_S4_S4_
		.amdhsa_group_segment_fixed_size 0
		.amdhsa_private_segment_fixed_size 0
		.amdhsa_kernarg_size 472
		.amdhsa_user_sgpr_count 2
		.amdhsa_user_sgpr_dispatch_ptr 0
		.amdhsa_user_sgpr_queue_ptr 0
		.amdhsa_user_sgpr_kernarg_segment_ptr 1
		.amdhsa_user_sgpr_dispatch_id 0
		.amdhsa_user_sgpr_kernarg_preload_length 0
		.amdhsa_user_sgpr_kernarg_preload_offset 0
		.amdhsa_user_sgpr_private_segment_size 0
		.amdhsa_wavefront_size32 1
		.amdhsa_uses_dynamic_stack 0
		.amdhsa_enable_private_segment 0
		.amdhsa_system_sgpr_workgroup_id_x 1
		.amdhsa_system_sgpr_workgroup_id_y 1
		.amdhsa_system_sgpr_workgroup_id_z 1
		.amdhsa_system_sgpr_workgroup_info 0
		.amdhsa_system_vgpr_workitem_id 0
		.amdhsa_next_free_vgpr 11
		.amdhsa_next_free_sgpr 26
		.amdhsa_named_barrier_count 0
		.amdhsa_reserve_vcc 1
		.amdhsa_float_round_mode_32 0
		.amdhsa_float_round_mode_16_64 0
		.amdhsa_float_denorm_mode_32 3
		.amdhsa_float_denorm_mode_16_64 3
		.amdhsa_fp16_overflow 0
		.amdhsa_memory_ordered 1
		.amdhsa_forward_progress 1
		.amdhsa_inst_pref_size 9
		.amdhsa_round_robin_scheduling 0
		.amdhsa_exception_fp_ieee_invalid_op 0
		.amdhsa_exception_fp_denorm_src 0
		.amdhsa_exception_fp_ieee_div_zero 0
		.amdhsa_exception_fp_ieee_overflow 0
		.amdhsa_exception_fp_ieee_underflow 0
		.amdhsa_exception_fp_ieee_inexact 0
		.amdhsa_exception_int_div_zero 0
	.end_amdhsa_kernel
	.section	.text._ZL12rms_norm_f32ILi256ELb0ELb0EEvPKfPfilllfS1_lll15HIP_vector_typeIjLj3EES4_S4_S4_S1_lllS4_S4_S4_S4_,"axG",@progbits,_ZL12rms_norm_f32ILi256ELb0ELb0EEvPKfPfilllfS1_lll15HIP_vector_typeIjLj3EES4_S4_S4_S1_lllS4_S4_S4_S4_,comdat
.Lfunc_end4:
	.size	_ZL12rms_norm_f32ILi256ELb0ELb0EEvPKfPfilllfS1_lll15HIP_vector_typeIjLj3EES4_S4_S4_S1_lllS4_S4_S4_S4_, .Lfunc_end4-_ZL12rms_norm_f32ILi256ELb0ELb0EEvPKfPfilllfS1_lll15HIP_vector_typeIjLj3EES4_S4_S4_S1_lllS4_S4_S4_S4_
                                        ; -- End function
	.set _ZL12rms_norm_f32ILi256ELb0ELb0EEvPKfPfilllfS1_lll15HIP_vector_typeIjLj3EES4_S4_S4_S1_lllS4_S4_S4_S4_.num_vgpr, 11
	.set _ZL12rms_norm_f32ILi256ELb0ELb0EEvPKfPfilllfS1_lll15HIP_vector_typeIjLj3EES4_S4_S4_S1_lllS4_S4_S4_S4_.num_agpr, 0
	.set _ZL12rms_norm_f32ILi256ELb0ELb0EEvPKfPfilllfS1_lll15HIP_vector_typeIjLj3EES4_S4_S4_S1_lllS4_S4_S4_S4_.numbered_sgpr, 26
	.set _ZL12rms_norm_f32ILi256ELb0ELb0EEvPKfPfilllfS1_lll15HIP_vector_typeIjLj3EES4_S4_S4_S1_lllS4_S4_S4_S4_.num_named_barrier, 0
	.set _ZL12rms_norm_f32ILi256ELb0ELb0EEvPKfPfilllfS1_lll15HIP_vector_typeIjLj3EES4_S4_S4_S1_lllS4_S4_S4_S4_.private_seg_size, 0
	.set _ZL12rms_norm_f32ILi256ELb0ELb0EEvPKfPfilllfS1_lll15HIP_vector_typeIjLj3EES4_S4_S4_S1_lllS4_S4_S4_S4_.uses_vcc, 1
	.set _ZL12rms_norm_f32ILi256ELb0ELb0EEvPKfPfilllfS1_lll15HIP_vector_typeIjLj3EES4_S4_S4_S1_lllS4_S4_S4_S4_.uses_flat_scratch, 0
	.set _ZL12rms_norm_f32ILi256ELb0ELb0EEvPKfPfilllfS1_lll15HIP_vector_typeIjLj3EES4_S4_S4_S1_lllS4_S4_S4_S4_.has_dyn_sized_stack, 0
	.set _ZL12rms_norm_f32ILi256ELb0ELb0EEvPKfPfilllfS1_lll15HIP_vector_typeIjLj3EES4_S4_S4_S1_lllS4_S4_S4_S4_.has_recursion, 0
	.set _ZL12rms_norm_f32ILi256ELb0ELb0EEvPKfPfilllfS1_lll15HIP_vector_typeIjLj3EES4_S4_S4_S1_lllS4_S4_S4_S4_.has_indirect_call, 0
	.section	.AMDGPU.csdata,"",@progbits
; Kernel info:
; codeLenInByte = 1080
; TotalNumSgprs: 28
; NumVgprs: 11
; ScratchSize: 0
; MemoryBound: 0
; FloatMode: 240
; IeeeMode: 1
; LDSByteSize: 0 bytes/workgroup (compile time only)
; SGPRBlocks: 0
; VGPRBlocks: 0
; NumSGPRsForWavesPerEU: 28
; NumVGPRsForWavesPerEU: 11
; NamedBarCnt: 0
; Occupancy: 16
; WaveLimiterHint : 0
; COMPUTE_PGM_RSRC2:SCRATCH_EN: 0
; COMPUTE_PGM_RSRC2:USER_SGPR: 2
; COMPUTE_PGM_RSRC2:TRAP_HANDLER: 0
; COMPUTE_PGM_RSRC2:TGID_X_EN: 1
; COMPUTE_PGM_RSRC2:TGID_Y_EN: 1
; COMPUTE_PGM_RSRC2:TGID_Z_EN: 1
; COMPUTE_PGM_RSRC2:TIDIG_COMP_CNT: 0
	.section	.text._ZL12rms_norm_f32ILi1024ELb0ELb0EEvPKfPfilllfS1_lll15HIP_vector_typeIjLj3EES4_S4_S4_S1_lllS4_S4_S4_S4_,"axG",@progbits,_ZL12rms_norm_f32ILi1024ELb0ELb0EEvPKfPfilllfS1_lll15HIP_vector_typeIjLj3EES4_S4_S4_S1_lllS4_S4_S4_S4_,comdat
	.globl	_ZL12rms_norm_f32ILi1024ELb0ELb0EEvPKfPfilllfS1_lll15HIP_vector_typeIjLj3EES4_S4_S4_S1_lllS4_S4_S4_S4_ ; -- Begin function _ZL12rms_norm_f32ILi1024ELb0ELb0EEvPKfPfilllfS1_lll15HIP_vector_typeIjLj3EES4_S4_S4_S1_lllS4_S4_S4_S4_
	.p2align	8
	.type	_ZL12rms_norm_f32ILi1024ELb0ELb0EEvPKfPfilllfS1_lll15HIP_vector_typeIjLj3EES4_S4_S4_S1_lllS4_S4_S4_S4_,@function
_ZL12rms_norm_f32ILi1024ELb0ELb0EEvPKfPfilllfS1_lll15HIP_vector_typeIjLj3EES4_S4_S4_S1_lllS4_S4_S4_S4_: ; @_ZL12rms_norm_f32ILi1024ELb0ELb0EEvPKfPfilllfS1_lll15HIP_vector_typeIjLj3EES4_S4_S4_S1_lllS4_S4_S4_S4_
; %bb.0:
	s_clause 0x4
	s_load_b128 s[4:7], s[0:1], 0x0
	s_load_b32 s3, s[0:1], 0x10
	s_load_b128 s[8:11], s[0:1], 0x18
	s_load_b64 s[20:21], s[0:1], 0x28
	s_load_b64 s[12:13], s[0:1], 0xd8
	s_bfe_u32 s2, ttmp6, 0x40014
	s_lshr_b32 s15, ttmp7, 16
	s_add_co_i32 s2, s2, 1
	s_bfe_u32 s16, ttmp6, 0x40010
	s_mul_i32 s2, s15, s2
	s_bfe_u32 s14, ttmp6, 0x40008
	s_and_b32 s17, ttmp7, 0xffff
	s_add_co_i32 s16, s16, 1
	s_bfe_u32 s18, ttmp6, 0x4000c
	s_add_co_i32 s2, s14, s2
	s_mul_i32 s14, s17, s16
	s_bfe_u32 s16, ttmp6, 0x40004
	s_add_co_i32 s18, s18, 1
	s_add_co_i32 s16, s16, s14
	s_and_b32 s14, ttmp6, 15
	s_mul_i32 s18, ttmp9, s18
	s_getreg_b32 s19, hwreg(HW_REG_IB_STS2, 6, 4)
	s_add_co_i32 s14, s14, s18
	s_cmp_eq_u32 s19, 0
	s_mov_b32 s19, 0
	s_cselect_b32 s14, ttmp9, s14
	s_wait_kmcnt 0x0
	v_cmp_gt_i32_e32 vcc_lo, s3, v0
	v_dual_mov_b32 v3, 0 :: v_dual_lshlrev_b32 v2, 2, v0
	s_cselect_b32 s16, s17, s16
	s_cselect_b32 s18, s15, s2
	s_mov_b32 s17, s19
	s_ashr_i32 s15, s14, 31
	s_mul_u64 s[20:21], s[20:21], s[18:19]
	s_mul_u64 s[10:11], s[10:11], s[16:17]
	s_mul_u64 s[8:9], s[8:9], s[14:15]
	s_and_saveexec_b32 s15, vcc_lo
	s_cbranch_execz .LBB5_4
; %bb.1:
	s_lshl_b64 s[22:23], s[20:21], 2
	s_lshl_b64 s[24:25], s[10:11], 2
	v_dual_mov_b32 v3, 0 :: v_dual_mov_b32 v1, v0
	s_add_nc_u64 s[22:23], s[22:23], s[24:25]
	s_lshl_b64 s[24:25], s[8:9], 2
	s_delay_alu instid0(SALU_CYCLE_1) | instskip(NEXT) | instid1(SALU_CYCLE_1)
	s_add_nc_u64 s[22:23], s[22:23], s[24:25]
	s_add_nc_u64 s[22:23], s[4:5], s[22:23]
	s_delay_alu instid0(SALU_CYCLE_1)
	v_add_nc_u64_e32 v[4:5], s[22:23], v[2:3]
.LBB5_2:                                ; =>This Inner Loop Header: Depth=1
	global_load_b32 v6, v[4:5], off
	v_add_nc_u32_e32 v1, 0x400, v1
	s_wait_xcnt 0x0
	v_add_nc_u64_e32 v[4:5], 0x1000, v[4:5]
	s_delay_alu instid0(VALU_DEP_2)
	v_cmp_le_i32_e64 s2, s3, v1
	s_or_b32 s19, s2, s19
	s_wait_loadcnt 0x0
	v_fmac_f32_e32 v3, v6, v6
	s_and_not1_b32 exec_lo, exec_lo, s19
	s_cbranch_execnz .LBB5_2
; %bb.3:
	s_or_b32 exec_lo, exec_lo, s19
.LBB5_4:
	s_delay_alu instid0(SALU_CYCLE_1) | instskip(SKIP_2) | instid1(VALU_DEP_1)
	s_or_b32 exec_lo, exec_lo, s15
	v_mbcnt_lo_u32_b32 v6, -1, 0
	s_mov_b32 s15, exec_lo
	v_xor_b32_e32 v4, 8, v6
	v_xor_b32_e32 v1, 16, v6
	;; [unrolled: 1-line block ×3, first 2 shown]
	s_delay_alu instid0(VALU_DEP_2) | instskip(NEXT) | instid1(VALU_DEP_1)
	v_cmp_gt_i32_e64 s2, 32, v1
	v_cndmask_b32_e64 v1, v6, v1, s2
	v_cmp_gt_i32_e64 s2, 32, v4
	s_delay_alu instid0(VALU_DEP_1) | instskip(NEXT) | instid1(VALU_DEP_1)
	v_cndmask_b32_e64 v4, v6, v4, s2
	v_dual_lshlrev_b32 v4, 2, v4 :: v_dual_lshlrev_b32 v1, 2, v1
	ds_bpermute_b32 v5, v1, v3
	s_wait_dscnt 0x0
	v_dual_add_f32 v5, v3, v5 :: v_dual_bitop2_b32 v3, 4, v6 bitop3:0x14
	ds_bpermute_b32 v7, v4, v5
	v_cmp_gt_i32_e64 s2, 32, v3
	s_delay_alu instid0(VALU_DEP_1) | instskip(SKIP_2) | instid1(VALU_DEP_1)
	v_cndmask_b32_e64 v3, v6, v3, s2
	s_wait_dscnt 0x0
	v_dual_add_f32 v7, v5, v7 :: v_dual_bitop2_b32 v5, 2, v6 bitop3:0x14
	v_cmp_gt_i32_e64 s2, 32, v5
	s_delay_alu instid0(VALU_DEP_1) | instskip(SKIP_1) | instid1(VALU_DEP_2)
	v_dual_lshlrev_b32 v3, 2, v3 :: v_dual_cndmask_b32 v5, v6, v5, s2
	v_cmp_gt_i32_e64 s2, 32, v9
	v_lshlrev_b32_e32 v5, 2, v5
	ds_bpermute_b32 v8, v3, v7
	s_wait_dscnt 0x0
	v_add_f32_e32 v7, v7, v8
	ds_bpermute_b32 v8, v5, v7
	s_wait_dscnt 0x0
	v_dual_cndmask_b32 v6, v6, v9, s2 :: v_dual_add_f32 v8, v7, v8
	s_delay_alu instid0(VALU_DEP_1)
	v_dual_lshlrev_b32 v6, 2, v6 :: v_dual_bitop2_b32 v7, 31, v0 bitop3:0x40
	ds_bpermute_b32 v9, v6, v8
	v_cmpx_eq_u32_e32 0, v7
	s_cbranch_execz .LBB5_6
; %bb.5:
	s_wait_dscnt 0x0
	v_dual_lshrrev_b32 v10, 3, v0 :: v_dual_add_f32 v8, v8, v9
	s_delay_alu instid0(VALU_DEP_1)
	v_add_nc_u32_e32 v9, 0, v10
	ds_store_b32 v9, v8
.LBB5_6:
	s_or_b32 exec_lo, exec_lo, s15
	v_lshl_add_u32 v7, v7, 2, 0
	s_wait_dscnt 0x0
	s_barrier_signal -1
	s_barrier_wait -1
	ds_load_b32 v7, v7
	s_wait_dscnt 0x0
	ds_bpermute_b32 v1, v1, v7
	s_wait_dscnt 0x0
	v_add_f32_e32 v1, v7, v1
	ds_bpermute_b32 v4, v4, v1
	s_wait_dscnt 0x0
	v_add_f32_e32 v1, v1, v4
	;; [unrolled: 3-line block ×4, first 2 shown]
	ds_bpermute_b32 v3, v6, v1
	s_and_saveexec_b32 s2, vcc_lo
	s_cbranch_execz .LBB5_9
; %bb.7:
	s_wait_dscnt 0x0
	v_add_f32_e32 v1, v1, v3
	s_cvt_f32_i32 s2, s3
	s_load_b32 s0, s[0:1], 0x30
	s_lshl_b64 s[10:11], s[10:11], 2
	s_lshl_b64 s[8:9], s[8:9], 2
	v_div_scale_f32 v3, null, s2, s2, v1
	v_div_scale_f32 v6, vcc_lo, v1, s2, v1
	s_delay_alu instid0(VALU_DEP_2) | instskip(SKIP_1) | instid1(TRANS32_DEP_1)
	v_rcp_f32_e32 v4, v3
	v_nop
	v_fma_f32 v5, -v3, v4, 1.0
	s_delay_alu instid0(VALU_DEP_1) | instskip(NEXT) | instid1(VALU_DEP_1)
	v_fmac_f32_e32 v4, v5, v4
	v_mul_f32_e32 v5, v6, v4
	s_delay_alu instid0(VALU_DEP_1) | instskip(NEXT) | instid1(VALU_DEP_1)
	v_fma_f32 v7, -v3, v5, v6
	v_fmac_f32_e32 v5, v7, v4
	s_delay_alu instid0(VALU_DEP_1) | instskip(NEXT) | instid1(VALU_DEP_1)
	v_fma_f32 v3, -v3, v5, v6
	v_div_fmas_f32 v3, v3, v4, v5
	s_delay_alu instid0(VALU_DEP_1) | instskip(SKIP_1) | instid1(SALU_CYCLE_1)
	v_div_fixup_f32 v1, v3, s2, v1
	s_mul_i32 s2, s13, s18
	s_add_co_i32 s2, s2, s16
	s_delay_alu instid0(SALU_CYCLE_1)
	s_mul_i32 s2, s2, s12
	s_wait_kmcnt 0x0
	v_add_f32_e32 v1, s0, v1
	s_add_co_i32 s2, s2, s14
	s_lshl_b64 s[0:1], s[20:21], 2
	s_mul_i32 s12, s2, s3
	s_add_nc_u64 s[0:1], s[0:1], s[10:11]
	v_mul_f32_e32 v3, 0x4b800000, v1
	v_cmp_gt_f32_e32 vcc_lo, 0x800000, v1
	s_ashr_i32 s13, s12, 31
	s_add_nc_u64 s[0:1], s[0:1], s[8:9]
	s_lshl_b64 s[8:9], s[12:13], 2
	s_add_nc_u64 s[0:1], s[4:5], s[0:1]
	v_dual_cndmask_b32 v1, v1, v3, vcc_lo :: v_dual_mov_b32 v3, 0
	s_add_nc_u64 s[4:5], s[6:7], s[8:9]
	s_delay_alu instid0(VALU_DEP_1) | instskip(NEXT) | instid1(VALU_DEP_1)
	v_rsq_f32_e32 v1, v1
	v_add_nc_u64_e32 v[4:5], s[0:1], v[2:3]
	v_add_nc_u64_e32 v[2:3], s[4:5], v[2:3]
	s_mov_b32 s0, 0
	s_delay_alu instid0(TRANS32_DEP_1) | instskip(NEXT) | instid1(VALU_DEP_1)
	v_mul_f32_e32 v6, 0x45800000, v1
	v_cndmask_b32_e32 v1, v1, v6, vcc_lo
.LBB5_8:                                ; =>This Inner Loop Header: Depth=1
	global_load_b32 v6, v[4:5], off
	v_add_nc_u32_e32 v0, 0x400, v0
	s_wait_xcnt 0x0
	v_add_nc_u64_e32 v[4:5], 0x1000, v[4:5]
	s_delay_alu instid0(VALU_DEP_2)
	v_cmp_le_i32_e32 vcc_lo, s3, v0
	s_or_b32 s0, vcc_lo, s0
	s_wait_loadcnt 0x0
	v_mul_f32_e32 v6, v1, v6
	global_store_b32 v[2:3], v6, off
	s_wait_xcnt 0x0
	v_add_nc_u64_e32 v[2:3], 0x1000, v[2:3]
	s_and_not1_b32 exec_lo, exec_lo, s0
	s_cbranch_execnz .LBB5_8
.LBB5_9:
	s_endpgm
	.section	.rodata,"a",@progbits
	.p2align	6, 0x0
	.amdhsa_kernel _ZL12rms_norm_f32ILi1024ELb0ELb0EEvPKfPfilllfS1_lll15HIP_vector_typeIjLj3EES4_S4_S4_S1_lllS4_S4_S4_S4_
		.amdhsa_group_segment_fixed_size 0
		.amdhsa_private_segment_fixed_size 0
		.amdhsa_kernarg_size 472
		.amdhsa_user_sgpr_count 2
		.amdhsa_user_sgpr_dispatch_ptr 0
		.amdhsa_user_sgpr_queue_ptr 0
		.amdhsa_user_sgpr_kernarg_segment_ptr 1
		.amdhsa_user_sgpr_dispatch_id 0
		.amdhsa_user_sgpr_kernarg_preload_length 0
		.amdhsa_user_sgpr_kernarg_preload_offset 0
		.amdhsa_user_sgpr_private_segment_size 0
		.amdhsa_wavefront_size32 1
		.amdhsa_uses_dynamic_stack 0
		.amdhsa_enable_private_segment 0
		.amdhsa_system_sgpr_workgroup_id_x 1
		.amdhsa_system_sgpr_workgroup_id_y 1
		.amdhsa_system_sgpr_workgroup_id_z 1
		.amdhsa_system_sgpr_workgroup_info 0
		.amdhsa_system_vgpr_workitem_id 0
		.amdhsa_next_free_vgpr 11
		.amdhsa_next_free_sgpr 26
		.amdhsa_named_barrier_count 0
		.amdhsa_reserve_vcc 1
		.amdhsa_float_round_mode_32 0
		.amdhsa_float_round_mode_16_64 0
		.amdhsa_float_denorm_mode_32 3
		.amdhsa_float_denorm_mode_16_64 3
		.amdhsa_fp16_overflow 0
		.amdhsa_memory_ordered 1
		.amdhsa_forward_progress 1
		.amdhsa_inst_pref_size 9
		.amdhsa_round_robin_scheduling 0
		.amdhsa_exception_fp_ieee_invalid_op 0
		.amdhsa_exception_fp_denorm_src 0
		.amdhsa_exception_fp_ieee_div_zero 0
		.amdhsa_exception_fp_ieee_overflow 0
		.amdhsa_exception_fp_ieee_underflow 0
		.amdhsa_exception_fp_ieee_inexact 0
		.amdhsa_exception_int_div_zero 0
	.end_amdhsa_kernel
	.section	.text._ZL12rms_norm_f32ILi1024ELb0ELb0EEvPKfPfilllfS1_lll15HIP_vector_typeIjLj3EES4_S4_S4_S1_lllS4_S4_S4_S4_,"axG",@progbits,_ZL12rms_norm_f32ILi1024ELb0ELb0EEvPKfPfilllfS1_lll15HIP_vector_typeIjLj3EES4_S4_S4_S1_lllS4_S4_S4_S4_,comdat
.Lfunc_end5:
	.size	_ZL12rms_norm_f32ILi1024ELb0ELb0EEvPKfPfilllfS1_lll15HIP_vector_typeIjLj3EES4_S4_S4_S1_lllS4_S4_S4_S4_, .Lfunc_end5-_ZL12rms_norm_f32ILi1024ELb0ELb0EEvPKfPfilllfS1_lll15HIP_vector_typeIjLj3EES4_S4_S4_S1_lllS4_S4_S4_S4_
                                        ; -- End function
	.set _ZL12rms_norm_f32ILi1024ELb0ELb0EEvPKfPfilllfS1_lll15HIP_vector_typeIjLj3EES4_S4_S4_S1_lllS4_S4_S4_S4_.num_vgpr, 11
	.set _ZL12rms_norm_f32ILi1024ELb0ELb0EEvPKfPfilllfS1_lll15HIP_vector_typeIjLj3EES4_S4_S4_S1_lllS4_S4_S4_S4_.num_agpr, 0
	.set _ZL12rms_norm_f32ILi1024ELb0ELb0EEvPKfPfilllfS1_lll15HIP_vector_typeIjLj3EES4_S4_S4_S1_lllS4_S4_S4_S4_.numbered_sgpr, 26
	.set _ZL12rms_norm_f32ILi1024ELb0ELb0EEvPKfPfilllfS1_lll15HIP_vector_typeIjLj3EES4_S4_S4_S1_lllS4_S4_S4_S4_.num_named_barrier, 0
	.set _ZL12rms_norm_f32ILi1024ELb0ELb0EEvPKfPfilllfS1_lll15HIP_vector_typeIjLj3EES4_S4_S4_S1_lllS4_S4_S4_S4_.private_seg_size, 0
	.set _ZL12rms_norm_f32ILi1024ELb0ELb0EEvPKfPfilllfS1_lll15HIP_vector_typeIjLj3EES4_S4_S4_S1_lllS4_S4_S4_S4_.uses_vcc, 1
	.set _ZL12rms_norm_f32ILi1024ELb0ELb0EEvPKfPfilllfS1_lll15HIP_vector_typeIjLj3EES4_S4_S4_S1_lllS4_S4_S4_S4_.uses_flat_scratch, 0
	.set _ZL12rms_norm_f32ILi1024ELb0ELb0EEvPKfPfilllfS1_lll15HIP_vector_typeIjLj3EES4_S4_S4_S1_lllS4_S4_S4_S4_.has_dyn_sized_stack, 0
	.set _ZL12rms_norm_f32ILi1024ELb0ELb0EEvPKfPfilllfS1_lll15HIP_vector_typeIjLj3EES4_S4_S4_S1_lllS4_S4_S4_S4_.has_recursion, 0
	.set _ZL12rms_norm_f32ILi1024ELb0ELb0EEvPKfPfilllfS1_lll15HIP_vector_typeIjLj3EES4_S4_S4_S1_lllS4_S4_S4_S4_.has_indirect_call, 0
	.section	.AMDGPU.csdata,"",@progbits
; Kernel info:
; codeLenInByte = 1064
; TotalNumSgprs: 28
; NumVgprs: 11
; ScratchSize: 0
; MemoryBound: 0
; FloatMode: 240
; IeeeMode: 1
; LDSByteSize: 0 bytes/workgroup (compile time only)
; SGPRBlocks: 0
; VGPRBlocks: 0
; NumSGPRsForWavesPerEU: 28
; NumVGPRsForWavesPerEU: 11
; NamedBarCnt: 0
; Occupancy: 16
; WaveLimiterHint : 0
; COMPUTE_PGM_RSRC2:SCRATCH_EN: 0
; COMPUTE_PGM_RSRC2:USER_SGPR: 2
; COMPUTE_PGM_RSRC2:TRAP_HANDLER: 0
; COMPUTE_PGM_RSRC2:TGID_X_EN: 1
; COMPUTE_PGM_RSRC2:TGID_Y_EN: 1
; COMPUTE_PGM_RSRC2:TGID_Z_EN: 1
; COMPUTE_PGM_RSRC2:TIDIG_COMP_CNT: 0
	.section	.text._ZL12rms_norm_f32ILi256ELb1ELb0EEvPKfPfilllfS1_lll15HIP_vector_typeIjLj3EES4_S4_S4_S1_lllS4_S4_S4_S4_,"axG",@progbits,_ZL12rms_norm_f32ILi256ELb1ELb0EEvPKfPfilllfS1_lll15HIP_vector_typeIjLj3EES4_S4_S4_S1_lllS4_S4_S4_S4_,comdat
	.globl	_ZL12rms_norm_f32ILi256ELb1ELb0EEvPKfPfilllfS1_lll15HIP_vector_typeIjLj3EES4_S4_S4_S1_lllS4_S4_S4_S4_ ; -- Begin function _ZL12rms_norm_f32ILi256ELb1ELb0EEvPKfPfilllfS1_lll15HIP_vector_typeIjLj3EES4_S4_S4_S1_lllS4_S4_S4_S4_
	.p2align	8
	.type	_ZL12rms_norm_f32ILi256ELb1ELb0EEvPKfPfilllfS1_lll15HIP_vector_typeIjLj3EES4_S4_S4_S1_lllS4_S4_S4_S4_,@function
_ZL12rms_norm_f32ILi256ELb1ELb0EEvPKfPfilllfS1_lll15HIP_vector_typeIjLj3EES4_S4_S4_S1_lllS4_S4_S4_S4_: ; @_ZL12rms_norm_f32ILi256ELb1ELb0EEvPKfPfilllfS1_lll15HIP_vector_typeIjLj3EES4_S4_S4_S1_lllS4_S4_S4_S4_
; %bb.0:
	s_clause 0x6
	s_load_b128 s[20:23], s[0:1], 0x0
	s_load_b32 s33, s[0:1], 0x10
	s_load_b128 s[12:15], s[0:1], 0x18
	s_load_b64 s[2:3], s[0:1], 0x28
	s_load_b256 s[4:11], s[0:1], 0x58
	s_load_b128 s[24:27], s[0:1], 0x78
	s_load_b64 s[28:29], s[0:1], 0xd8
	s_bfe_u32 s16, ttmp6, 0x40014
	s_lshr_b32 s17, ttmp7, 16
	s_add_co_i32 s16, s16, 1
	s_bfe_u32 s19, ttmp6, 0x40010
	s_mul_i32 s16, s17, s16
	s_bfe_u32 s18, ttmp6, 0x40008
	s_and_b32 s30, ttmp7, 0xffff
	s_add_co_i32 s19, s19, 1
	s_bfe_u32 s31, ttmp6, 0x4000c
	s_add_co_i32 s18, s18, s16
	s_mul_i32 s16, s30, s19
	s_bfe_u32 s19, ttmp6, 0x40004
	s_add_co_i32 s31, s31, 1
	s_add_co_i32 s19, s19, s16
	s_and_b32 s16, ttmp6, 15
	s_mul_i32 s31, ttmp9, s31
	s_getreg_b32 s34, hwreg(HW_REG_IB_STS2, 6, 4)
	s_add_co_i32 s16, s16, s31
	s_cmp_eq_u32 s34, 0
	s_mov_b32 s37, 0
	s_cselect_b32 s34, ttmp9, s16
	s_wait_kmcnt 0x0
	v_cmp_gt_i32_e32 vcc_lo, s33, v0
	v_dual_mov_b32 v3, 0 :: v_dual_lshlrev_b32 v2, 2, v0
	s_cselect_b32 s30, s30, s19
	s_cselect_b32 s36, s17, s18
	s_mov_b32 s31, s37
	s_ashr_i32 s35, s34, 31
	s_mul_u64 s[40:41], s[2:3], s[36:37]
	s_mul_u64 s[42:43], s[14:15], s[30:31]
	;; [unrolled: 1-line block ×3, first 2 shown]
	s_and_saveexec_b32 s3, vcc_lo
	s_cbranch_execz .LBB6_4
; %bb.1:
	s_lshl_b64 s[12:13], s[40:41], 2
	s_lshl_b64 s[14:15], s[42:43], 2
	v_dual_mov_b32 v3, 0 :: v_dual_mov_b32 v1, v0
	s_add_nc_u64 s[12:13], s[12:13], s[14:15]
	s_lshl_b64 s[14:15], s[38:39], 2
	s_delay_alu instid0(SALU_CYCLE_1) | instskip(NEXT) | instid1(SALU_CYCLE_1)
	s_add_nc_u64 s[12:13], s[12:13], s[14:15]
	s_add_nc_u64 s[12:13], s[20:21], s[12:13]
	s_delay_alu instid0(SALU_CYCLE_1)
	v_add_nc_u64_e32 v[4:5], s[12:13], v[2:3]
.LBB6_2:                                ; =>This Inner Loop Header: Depth=1
	global_load_b32 v6, v[4:5], off
	v_add_nc_u32_e32 v1, 0x100, v1
	s_wait_xcnt 0x0
	v_add_nc_u64_e32 v[4:5], 0x400, v[4:5]
	s_delay_alu instid0(VALU_DEP_2)
	v_cmp_le_i32_e64 s2, s33, v1
	s_or_b32 s37, s2, s37
	s_wait_loadcnt 0x0
	v_fmac_f32_e32 v3, v6, v6
	s_and_not1_b32 exec_lo, exec_lo, s37
	s_cbranch_execnz .LBB6_2
; %bb.3:
	s_or_b32 exec_lo, exec_lo, s37
.LBB6_4:
	s_delay_alu instid0(SALU_CYCLE_1) | instskip(SKIP_2) | instid1(VALU_DEP_1)
	s_or_b32 exec_lo, exec_lo, s3
	v_mbcnt_lo_u32_b32 v6, -1, 0
	s_mov_b32 s3, exec_lo
	v_xor_b32_e32 v4, 8, v6
	v_xor_b32_e32 v1, 16, v6
	;; [unrolled: 1-line block ×3, first 2 shown]
	s_delay_alu instid0(VALU_DEP_2) | instskip(NEXT) | instid1(VALU_DEP_1)
	v_cmp_gt_i32_e64 s2, 32, v1
	v_cndmask_b32_e64 v1, v6, v1, s2
	v_cmp_gt_i32_e64 s2, 32, v4
	s_delay_alu instid0(VALU_DEP_1) | instskip(NEXT) | instid1(VALU_DEP_1)
	v_cndmask_b32_e64 v4, v6, v4, s2
	v_dual_lshlrev_b32 v4, 2, v4 :: v_dual_lshlrev_b32 v1, 2, v1
	ds_bpermute_b32 v5, v1, v3
	s_wait_dscnt 0x0
	v_dual_add_f32 v5, v3, v5 :: v_dual_bitop2_b32 v3, 4, v6 bitop3:0x14
	ds_bpermute_b32 v7, v4, v5
	v_cmp_gt_i32_e64 s2, 32, v3
	s_delay_alu instid0(VALU_DEP_1) | instskip(SKIP_2) | instid1(VALU_DEP_1)
	v_cndmask_b32_e64 v3, v6, v3, s2
	s_wait_dscnt 0x0
	v_dual_add_f32 v7, v5, v7 :: v_dual_bitop2_b32 v5, 2, v6 bitop3:0x14
	v_cmp_gt_i32_e64 s2, 32, v5
	s_delay_alu instid0(VALU_DEP_1) | instskip(SKIP_1) | instid1(VALU_DEP_2)
	v_dual_lshlrev_b32 v3, 2, v3 :: v_dual_cndmask_b32 v5, v6, v5, s2
	v_cmp_gt_i32_e64 s2, 32, v9
	v_lshlrev_b32_e32 v5, 2, v5
	ds_bpermute_b32 v8, v3, v7
	s_wait_dscnt 0x0
	v_add_f32_e32 v7, v7, v8
	ds_bpermute_b32 v8, v5, v7
	s_wait_dscnt 0x0
	v_dual_cndmask_b32 v6, v6, v9, s2 :: v_dual_add_f32 v8, v7, v8
	s_delay_alu instid0(VALU_DEP_1)
	v_dual_lshlrev_b32 v6, 2, v6 :: v_dual_bitop2_b32 v7, 31, v0 bitop3:0x40
	ds_bpermute_b32 v9, v6, v8
	v_cmpx_eq_u32_e32 0, v7
	s_cbranch_execz .LBB6_6
; %bb.5:
	s_wait_dscnt 0x0
	v_dual_lshrrev_b32 v10, 3, v0 :: v_dual_add_f32 v8, v8, v9
	s_delay_alu instid0(VALU_DEP_1)
	v_add_nc_u32_e32 v9, 0, v10
	ds_store_b32 v9, v8
.LBB6_6:
	s_or_b32 exec_lo, exec_lo, s3
	v_mov_b32_e32 v8, 0
	s_mov_b32 s3, exec_lo
	s_wait_dscnt 0x0
	s_barrier_signal -1
	s_barrier_wait -1
	v_cmpx_gt_u32_e32 8, v7
; %bb.7:
	v_lshl_add_u32 v7, v7, 2, 0
	ds_load_b32 v8, v7
; %bb.8:
	s_or_b32 exec_lo, exec_lo, s3
	s_wait_dscnt 0x0
	ds_bpermute_b32 v1, v1, v8
	s_wait_dscnt 0x0
	v_add_f32_e32 v1, v8, v1
	ds_bpermute_b32 v4, v4, v1
	s_wait_dscnt 0x0
	v_add_f32_e32 v1, v1, v4
	;; [unrolled: 3-line block ×4, first 2 shown]
	ds_bpermute_b32 v3, v6, v1
	s_and_saveexec_b32 s2, vcc_lo
	s_cbranch_execz .LBB6_11
; %bb.9:
	s_wait_dscnt 0x0
	v_add_f32_e32 v3, v1, v3
	s_cvt_f32_i32 s31, s33
	s_clause 0x1
	s_load_b32 s35, s[0:1], 0x30
	s_load_b256 s[12:19], s[0:1], 0x38
	s_wait_xcnt 0x0
	s_mul_i32 s0, s29, s36
	s_mul_hi_u32 s25, s25, s36
	v_div_scale_f32 v4, null, s31, s31, v3
	s_add_co_i32 s0, s0, s30
	s_add_co_i32 s37, s36, s25
	s_mul_i32 s28, s0, s28
	v_rcp_f32_e32 v5, v4
	s_lshr_b32 s0, s37, s26
	s_mul_hi_u32 s7, s7, s34
	s_mul_hi_u32 s10, s10, s30
	s_mul_i32 s0, s0, s27
	s_mov_b32 s1, 0
	s_add_co_i32 s7, s34, s7
	v_nop
	v_fma_f32 v1, -v4, v5, 1.0
	s_add_co_i32 s10, s30, s10
	s_sub_co_i32 s0, s36, s0
	s_lshr_b32 s7, s7, s8
	s_lshr_b32 s8, s10, s11
	v_fmac_f32_e32 v5, v1, v5
	v_div_scale_f32 v6, vcc_lo, v3, s31, v3
	s_wait_kmcnt 0x0
	s_mul_u64 s[10:11], s[18:19], s[0:1]
	s_mov_b32 s0, s4
	s_delay_alu instid0(VALU_DEP_1)
	v_dual_mov_b32 v1, 0 :: v_dual_mul_f32 v7, v6, v5
	s_add_co_i32 s4, s28, s34
	s_lshl_b64 s[2:3], s[40:41], 2
	s_lshl_b64 s[40:41], s[42:43], 2
	s_mul_i32 s18, s8, s24
	v_fma_f32 v8, -v4, v7, v6
	s_mul_i32 s8, s4, s33
	s_lshl_b64 s[38:39], s[38:39], 2
	s_add_nc_u64 s[2:3], s[2:3], s[40:41]
	s_mul_i32 s7, s7, s9
	v_fmac_f32_e32 v7, v8, v5
	s_ashr_i32 s9, s8, 31
	s_add_nc_u64 s[2:3], s[2:3], s[38:39]
	s_lshl_b64 s[8:9], s[8:9], 2
	s_mov_b32 s25, s1
	v_fma_f32 v4, -v4, v7, v6
	s_sub_co_i32 s24, s30, s18
	s_add_nc_u64 s[8:9], s[22:23], s[8:9]
	s_add_nc_u64 s[2:3], s[20:21], s[2:3]
	s_mov_b32 s29, s1
	v_div_fmas_f32 v4, v4, v5, v7
	s_sub_co_i32 s28, s34, s7
	s_mul_u64 s[16:17], s[16:17], s[24:25]
	s_lshl_b64 s[10:11], s[10:11], 2
	s_lshl_b64 s[16:17], s[16:17], 2
	v_div_fixup_f32 v3, v4, s31, v3
	v_mul_u64_e32 v[4:5], s[0:1], v[0:1]
	s_add_nc_u64 s[10:11], s[12:13], s[10:11]
	s_mul_u64 s[12:13], s[14:15], s[28:29]
	s_add_nc_u64 s[10:11], s[10:11], s[16:17]
	v_add_f32_e32 v6, s35, v3
	s_delay_alu instid0(VALU_DEP_1) | instskip(SKIP_2) | instid1(VALU_DEP_1)
	v_cmp_gt_f32_e32 vcc_lo, 0x800000, v6
	v_mov_b32_e32 v3, v1
	v_mul_f32_e32 v1, 0x4b800000, v6
	v_cndmask_b32_e32 v1, v6, v1, vcc_lo
	s_delay_alu instid0(VALU_DEP_3)
	v_add_nc_u64_e32 v[6:7], s[8:9], v[2:3]
	v_add_nc_u64_e32 v[2:3], s[2:3], v[2:3]
	s_lshl_b64 s[2:3], s[12:13], 2
	s_lshl_b64 s[8:9], s[0:1], 8
	v_rsq_f32_e32 v1, v1
	s_add_nc_u64 s[2:3], s[10:11], s[2:3]
	s_sub_co_i32 s0, 0, s6
	v_nop
	s_delay_alu instid0(TRANS32_DEP_1) | instskip(NEXT) | instid1(VALU_DEP_1)
	v_mul_f32_e32 v8, 0x45800000, v1
	v_cndmask_b32_e32 v1, v1, v8, vcc_lo
.LBB6_10:                               ; =>This Inner Loop Header: Depth=1
	v_add_nc_u32_e32 v8, v0, v5
	v_add_nc_u64_e32 v[4:5], s[8:9], v[4:5]
	s_delay_alu instid0(VALU_DEP_2) | instskip(NEXT) | instid1(VALU_DEP_1)
	v_lshrrev_b32_e32 v8, s5, v8
	v_mad_u32 v8, s0, v8, v0
	v_add_nc_u32_e32 v0, 0x100, v0
	global_load_b32 v9, v[2:3], off
	global_load_b32 v10, v8, s[2:3] scale_offset
	s_wait_xcnt 0x1
	v_add_nc_u64_e32 v[2:3], 0x400, v[2:3]
	v_cmp_le_i32_e32 vcc_lo, s33, v0
	s_or_b32 s1, vcc_lo, s1
	s_wait_loadcnt 0x1
	s_wait_xcnt 0x0
	v_mul_f32_e32 v8, v1, v9
	s_wait_loadcnt 0x0
	s_delay_alu instid0(VALU_DEP_1)
	v_mul_f32_e32 v8, v8, v10
	global_store_b32 v[6:7], v8, off
	s_wait_xcnt 0x0
	v_add_nc_u64_e32 v[6:7], 0x400, v[6:7]
	s_and_not1_b32 exec_lo, exec_lo, s1
	s_cbranch_execnz .LBB6_10
.LBB6_11:
	s_endpgm
	.section	.rodata,"a",@progbits
	.p2align	6, 0x0
	.amdhsa_kernel _ZL12rms_norm_f32ILi256ELb1ELb0EEvPKfPfilllfS1_lll15HIP_vector_typeIjLj3EES4_S4_S4_S1_lllS4_S4_S4_S4_
		.amdhsa_group_segment_fixed_size 0
		.amdhsa_private_segment_fixed_size 0
		.amdhsa_kernarg_size 472
		.amdhsa_user_sgpr_count 2
		.amdhsa_user_sgpr_dispatch_ptr 0
		.amdhsa_user_sgpr_queue_ptr 0
		.amdhsa_user_sgpr_kernarg_segment_ptr 1
		.amdhsa_user_sgpr_dispatch_id 0
		.amdhsa_user_sgpr_kernarg_preload_length 0
		.amdhsa_user_sgpr_kernarg_preload_offset 0
		.amdhsa_user_sgpr_private_segment_size 0
		.amdhsa_wavefront_size32 1
		.amdhsa_uses_dynamic_stack 0
		.amdhsa_enable_private_segment 0
		.amdhsa_system_sgpr_workgroup_id_x 1
		.amdhsa_system_sgpr_workgroup_id_y 1
		.amdhsa_system_sgpr_workgroup_id_z 1
		.amdhsa_system_sgpr_workgroup_info 0
		.amdhsa_system_vgpr_workitem_id 0
		.amdhsa_next_free_vgpr 11
		.amdhsa_next_free_sgpr 44
		.amdhsa_named_barrier_count 0
		.amdhsa_reserve_vcc 1
		.amdhsa_float_round_mode_32 0
		.amdhsa_float_round_mode_16_64 0
		.amdhsa_float_denorm_mode_32 3
		.amdhsa_float_denorm_mode_16_64 3
		.amdhsa_fp16_overflow 0
		.amdhsa_memory_ordered 1
		.amdhsa_forward_progress 1
		.amdhsa_inst_pref_size 10
		.amdhsa_round_robin_scheduling 0
		.amdhsa_exception_fp_ieee_invalid_op 0
		.amdhsa_exception_fp_denorm_src 0
		.amdhsa_exception_fp_ieee_div_zero 0
		.amdhsa_exception_fp_ieee_overflow 0
		.amdhsa_exception_fp_ieee_underflow 0
		.amdhsa_exception_fp_ieee_inexact 0
		.amdhsa_exception_int_div_zero 0
	.end_amdhsa_kernel
	.section	.text._ZL12rms_norm_f32ILi256ELb1ELb0EEvPKfPfilllfS1_lll15HIP_vector_typeIjLj3EES4_S4_S4_S1_lllS4_S4_S4_S4_,"axG",@progbits,_ZL12rms_norm_f32ILi256ELb1ELb0EEvPKfPfilllfS1_lll15HIP_vector_typeIjLj3EES4_S4_S4_S1_lllS4_S4_S4_S4_,comdat
.Lfunc_end6:
	.size	_ZL12rms_norm_f32ILi256ELb1ELb0EEvPKfPfilllfS1_lll15HIP_vector_typeIjLj3EES4_S4_S4_S1_lllS4_S4_S4_S4_, .Lfunc_end6-_ZL12rms_norm_f32ILi256ELb1ELb0EEvPKfPfilllfS1_lll15HIP_vector_typeIjLj3EES4_S4_S4_S1_lllS4_S4_S4_S4_
                                        ; -- End function
	.set _ZL12rms_norm_f32ILi256ELb1ELb0EEvPKfPfilllfS1_lll15HIP_vector_typeIjLj3EES4_S4_S4_S1_lllS4_S4_S4_S4_.num_vgpr, 11
	.set _ZL12rms_norm_f32ILi256ELb1ELb0EEvPKfPfilllfS1_lll15HIP_vector_typeIjLj3EES4_S4_S4_S1_lllS4_S4_S4_S4_.num_agpr, 0
	.set _ZL12rms_norm_f32ILi256ELb1ELb0EEvPKfPfilllfS1_lll15HIP_vector_typeIjLj3EES4_S4_S4_S1_lllS4_S4_S4_S4_.numbered_sgpr, 44
	.set _ZL12rms_norm_f32ILi256ELb1ELb0EEvPKfPfilllfS1_lll15HIP_vector_typeIjLj3EES4_S4_S4_S1_lllS4_S4_S4_S4_.num_named_barrier, 0
	.set _ZL12rms_norm_f32ILi256ELb1ELb0EEvPKfPfilllfS1_lll15HIP_vector_typeIjLj3EES4_S4_S4_S1_lllS4_S4_S4_S4_.private_seg_size, 0
	.set _ZL12rms_norm_f32ILi256ELb1ELb0EEvPKfPfilllfS1_lll15HIP_vector_typeIjLj3EES4_S4_S4_S1_lllS4_S4_S4_S4_.uses_vcc, 1
	.set _ZL12rms_norm_f32ILi256ELb1ELb0EEvPKfPfilllfS1_lll15HIP_vector_typeIjLj3EES4_S4_S4_S1_lllS4_S4_S4_S4_.uses_flat_scratch, 0
	.set _ZL12rms_norm_f32ILi256ELb1ELb0EEvPKfPfilllfS1_lll15HIP_vector_typeIjLj3EES4_S4_S4_S1_lllS4_S4_S4_S4_.has_dyn_sized_stack, 0
	.set _ZL12rms_norm_f32ILi256ELb1ELb0EEvPKfPfilllfS1_lll15HIP_vector_typeIjLj3EES4_S4_S4_S1_lllS4_S4_S4_S4_.has_recursion, 0
	.set _ZL12rms_norm_f32ILi256ELb1ELb0EEvPKfPfilllfS1_lll15HIP_vector_typeIjLj3EES4_S4_S4_S1_lllS4_S4_S4_S4_.has_indirect_call, 0
	.section	.AMDGPU.csdata,"",@progbits
; Kernel info:
; codeLenInByte = 1272
; TotalNumSgprs: 46
; NumVgprs: 11
; ScratchSize: 0
; MemoryBound: 0
; FloatMode: 240
; IeeeMode: 1
; LDSByteSize: 0 bytes/workgroup (compile time only)
; SGPRBlocks: 0
; VGPRBlocks: 0
; NumSGPRsForWavesPerEU: 46
; NumVGPRsForWavesPerEU: 11
; NamedBarCnt: 0
; Occupancy: 16
; WaveLimiterHint : 0
; COMPUTE_PGM_RSRC2:SCRATCH_EN: 0
; COMPUTE_PGM_RSRC2:USER_SGPR: 2
; COMPUTE_PGM_RSRC2:TRAP_HANDLER: 0
; COMPUTE_PGM_RSRC2:TGID_X_EN: 1
; COMPUTE_PGM_RSRC2:TGID_Y_EN: 1
; COMPUTE_PGM_RSRC2:TGID_Z_EN: 1
; COMPUTE_PGM_RSRC2:TIDIG_COMP_CNT: 0
	.section	.text._ZL12rms_norm_f32ILi1024ELb1ELb0EEvPKfPfilllfS1_lll15HIP_vector_typeIjLj3EES4_S4_S4_S1_lllS4_S4_S4_S4_,"axG",@progbits,_ZL12rms_norm_f32ILi1024ELb1ELb0EEvPKfPfilllfS1_lll15HIP_vector_typeIjLj3EES4_S4_S4_S1_lllS4_S4_S4_S4_,comdat
	.globl	_ZL12rms_norm_f32ILi1024ELb1ELb0EEvPKfPfilllfS1_lll15HIP_vector_typeIjLj3EES4_S4_S4_S1_lllS4_S4_S4_S4_ ; -- Begin function _ZL12rms_norm_f32ILi1024ELb1ELb0EEvPKfPfilllfS1_lll15HIP_vector_typeIjLj3EES4_S4_S4_S1_lllS4_S4_S4_S4_
	.p2align	8
	.type	_ZL12rms_norm_f32ILi1024ELb1ELb0EEvPKfPfilllfS1_lll15HIP_vector_typeIjLj3EES4_S4_S4_S1_lllS4_S4_S4_S4_,@function
_ZL12rms_norm_f32ILi1024ELb1ELb0EEvPKfPfilllfS1_lll15HIP_vector_typeIjLj3EES4_S4_S4_S1_lllS4_S4_S4_S4_: ; @_ZL12rms_norm_f32ILi1024ELb1ELb0EEvPKfPfilllfS1_lll15HIP_vector_typeIjLj3EES4_S4_S4_S1_lllS4_S4_S4_S4_
; %bb.0:
	s_clause 0x6
	s_load_b128 s[20:23], s[0:1], 0x0
	s_load_b32 s33, s[0:1], 0x10
	s_load_b128 s[12:15], s[0:1], 0x18
	s_load_b64 s[2:3], s[0:1], 0x28
	s_load_b256 s[4:11], s[0:1], 0x58
	s_load_b128 s[24:27], s[0:1], 0x78
	s_load_b64 s[28:29], s[0:1], 0xd8
	s_bfe_u32 s16, ttmp6, 0x40014
	s_lshr_b32 s17, ttmp7, 16
	s_add_co_i32 s16, s16, 1
	s_bfe_u32 s19, ttmp6, 0x40010
	s_mul_i32 s16, s17, s16
	s_bfe_u32 s18, ttmp6, 0x40008
	s_and_b32 s30, ttmp7, 0xffff
	s_add_co_i32 s19, s19, 1
	s_bfe_u32 s31, ttmp6, 0x4000c
	s_add_co_i32 s18, s18, s16
	s_mul_i32 s16, s30, s19
	s_bfe_u32 s19, ttmp6, 0x40004
	s_add_co_i32 s31, s31, 1
	s_add_co_i32 s19, s19, s16
	s_and_b32 s16, ttmp6, 15
	s_mul_i32 s31, ttmp9, s31
	s_getreg_b32 s34, hwreg(HW_REG_IB_STS2, 6, 4)
	s_add_co_i32 s16, s16, s31
	s_cmp_eq_u32 s34, 0
	s_mov_b32 s37, 0
	s_cselect_b32 s34, ttmp9, s16
	s_wait_kmcnt 0x0
	v_cmp_gt_i32_e32 vcc_lo, s33, v0
	v_dual_mov_b32 v3, 0 :: v_dual_lshlrev_b32 v2, 2, v0
	s_cselect_b32 s30, s30, s19
	s_cselect_b32 s36, s17, s18
	s_mov_b32 s31, s37
	s_ashr_i32 s35, s34, 31
	s_mul_u64 s[40:41], s[2:3], s[36:37]
	s_mul_u64 s[42:43], s[14:15], s[30:31]
	;; [unrolled: 1-line block ×3, first 2 shown]
	s_and_saveexec_b32 s3, vcc_lo
	s_cbranch_execz .LBB7_4
; %bb.1:
	s_lshl_b64 s[12:13], s[40:41], 2
	s_lshl_b64 s[14:15], s[42:43], 2
	v_dual_mov_b32 v3, 0 :: v_dual_mov_b32 v1, v0
	s_add_nc_u64 s[12:13], s[12:13], s[14:15]
	s_lshl_b64 s[14:15], s[38:39], 2
	s_delay_alu instid0(SALU_CYCLE_1) | instskip(NEXT) | instid1(SALU_CYCLE_1)
	s_add_nc_u64 s[12:13], s[12:13], s[14:15]
	s_add_nc_u64 s[12:13], s[20:21], s[12:13]
	s_delay_alu instid0(SALU_CYCLE_1)
	v_add_nc_u64_e32 v[4:5], s[12:13], v[2:3]
.LBB7_2:                                ; =>This Inner Loop Header: Depth=1
	global_load_b32 v6, v[4:5], off
	v_add_nc_u32_e32 v1, 0x400, v1
	s_wait_xcnt 0x0
	v_add_nc_u64_e32 v[4:5], 0x1000, v[4:5]
	s_delay_alu instid0(VALU_DEP_2)
	v_cmp_le_i32_e64 s2, s33, v1
	s_or_b32 s37, s2, s37
	s_wait_loadcnt 0x0
	v_fmac_f32_e32 v3, v6, v6
	s_and_not1_b32 exec_lo, exec_lo, s37
	s_cbranch_execnz .LBB7_2
; %bb.3:
	s_or_b32 exec_lo, exec_lo, s37
.LBB7_4:
	s_delay_alu instid0(SALU_CYCLE_1) | instskip(SKIP_2) | instid1(VALU_DEP_1)
	s_or_b32 exec_lo, exec_lo, s3
	v_mbcnt_lo_u32_b32 v6, -1, 0
	s_mov_b32 s3, exec_lo
	v_xor_b32_e32 v4, 8, v6
	v_xor_b32_e32 v1, 16, v6
	;; [unrolled: 1-line block ×3, first 2 shown]
	s_delay_alu instid0(VALU_DEP_2) | instskip(NEXT) | instid1(VALU_DEP_1)
	v_cmp_gt_i32_e64 s2, 32, v1
	v_cndmask_b32_e64 v1, v6, v1, s2
	v_cmp_gt_i32_e64 s2, 32, v4
	s_delay_alu instid0(VALU_DEP_1) | instskip(NEXT) | instid1(VALU_DEP_1)
	v_cndmask_b32_e64 v4, v6, v4, s2
	v_dual_lshlrev_b32 v4, 2, v4 :: v_dual_lshlrev_b32 v1, 2, v1
	ds_bpermute_b32 v5, v1, v3
	s_wait_dscnt 0x0
	v_dual_add_f32 v5, v3, v5 :: v_dual_bitop2_b32 v3, 4, v6 bitop3:0x14
	ds_bpermute_b32 v7, v4, v5
	v_cmp_gt_i32_e64 s2, 32, v3
	s_delay_alu instid0(VALU_DEP_1) | instskip(SKIP_2) | instid1(VALU_DEP_1)
	v_cndmask_b32_e64 v3, v6, v3, s2
	s_wait_dscnt 0x0
	v_dual_add_f32 v7, v5, v7 :: v_dual_bitop2_b32 v5, 2, v6 bitop3:0x14
	v_cmp_gt_i32_e64 s2, 32, v5
	s_delay_alu instid0(VALU_DEP_1) | instskip(SKIP_1) | instid1(VALU_DEP_2)
	v_dual_lshlrev_b32 v3, 2, v3 :: v_dual_cndmask_b32 v5, v6, v5, s2
	v_cmp_gt_i32_e64 s2, 32, v9
	v_lshlrev_b32_e32 v5, 2, v5
	ds_bpermute_b32 v8, v3, v7
	s_wait_dscnt 0x0
	v_add_f32_e32 v7, v7, v8
	ds_bpermute_b32 v8, v5, v7
	s_wait_dscnt 0x0
	v_dual_cndmask_b32 v6, v6, v9, s2 :: v_dual_add_f32 v8, v7, v8
	s_delay_alu instid0(VALU_DEP_1)
	v_dual_lshlrev_b32 v6, 2, v6 :: v_dual_bitop2_b32 v7, 31, v0 bitop3:0x40
	ds_bpermute_b32 v9, v6, v8
	v_cmpx_eq_u32_e32 0, v7
	s_cbranch_execz .LBB7_6
; %bb.5:
	s_wait_dscnt 0x0
	v_dual_lshrrev_b32 v10, 3, v0 :: v_dual_add_f32 v8, v8, v9
	s_delay_alu instid0(VALU_DEP_1)
	v_add_nc_u32_e32 v9, 0, v10
	ds_store_b32 v9, v8
.LBB7_6:
	s_or_b32 exec_lo, exec_lo, s3
	v_lshl_add_u32 v7, v7, 2, 0
	s_wait_dscnt 0x0
	s_barrier_signal -1
	s_barrier_wait -1
	ds_load_b32 v7, v7
	s_wait_dscnt 0x0
	ds_bpermute_b32 v1, v1, v7
	s_wait_dscnt 0x0
	v_add_f32_e32 v1, v7, v1
	ds_bpermute_b32 v4, v4, v1
	s_wait_dscnt 0x0
	v_add_f32_e32 v1, v1, v4
	;; [unrolled: 3-line block ×4, first 2 shown]
	ds_bpermute_b32 v3, v6, v1
	s_and_saveexec_b32 s2, vcc_lo
	s_cbranch_execz .LBB7_9
; %bb.7:
	s_wait_dscnt 0x0
	v_add_f32_e32 v3, v1, v3
	s_cvt_f32_i32 s31, s33
	s_clause 0x1
	s_load_b32 s35, s[0:1], 0x30
	s_load_b256 s[12:19], s[0:1], 0x38
	s_wait_xcnt 0x0
	s_mul_i32 s0, s29, s36
	s_mul_hi_u32 s25, s25, s36
	v_div_scale_f32 v4, null, s31, s31, v3
	s_add_co_i32 s0, s0, s30
	s_add_co_i32 s37, s36, s25
	s_mul_i32 s28, s0, s28
	v_rcp_f32_e32 v5, v4
	s_lshr_b32 s0, s37, s26
	s_mul_hi_u32 s7, s7, s34
	s_mul_hi_u32 s10, s10, s30
	s_mul_i32 s0, s0, s27
	s_mov_b32 s1, 0
	s_add_co_i32 s7, s34, s7
	v_nop
	v_fma_f32 v1, -v4, v5, 1.0
	s_add_co_i32 s10, s30, s10
	s_sub_co_i32 s0, s36, s0
	s_lshr_b32 s7, s7, s8
	s_lshr_b32 s8, s10, s11
	v_fmac_f32_e32 v5, v1, v5
	v_div_scale_f32 v6, vcc_lo, v3, s31, v3
	s_wait_kmcnt 0x0
	s_mul_u64 s[10:11], s[18:19], s[0:1]
	s_mov_b32 s0, s4
	s_delay_alu instid0(VALU_DEP_1)
	v_dual_mov_b32 v1, 0 :: v_dual_mul_f32 v7, v6, v5
	s_add_co_i32 s4, s28, s34
	s_lshl_b64 s[2:3], s[40:41], 2
	s_lshl_b64 s[40:41], s[42:43], 2
	s_mul_i32 s18, s8, s24
	v_fma_f32 v8, -v4, v7, v6
	s_mul_i32 s8, s4, s33
	s_lshl_b64 s[38:39], s[38:39], 2
	s_add_nc_u64 s[2:3], s[2:3], s[40:41]
	s_mul_i32 s7, s7, s9
	v_fmac_f32_e32 v7, v8, v5
	s_ashr_i32 s9, s8, 31
	s_add_nc_u64 s[2:3], s[2:3], s[38:39]
	s_lshl_b64 s[8:9], s[8:9], 2
	s_mov_b32 s25, s1
	v_fma_f32 v4, -v4, v7, v6
	s_sub_co_i32 s24, s30, s18
	s_add_nc_u64 s[8:9], s[22:23], s[8:9]
	s_add_nc_u64 s[2:3], s[20:21], s[2:3]
	s_mov_b32 s29, s1
	v_div_fmas_f32 v4, v4, v5, v7
	s_sub_co_i32 s28, s34, s7
	s_mul_u64 s[16:17], s[16:17], s[24:25]
	s_lshl_b64 s[10:11], s[10:11], 2
	s_lshl_b64 s[16:17], s[16:17], 2
	v_div_fixup_f32 v3, v4, s31, v3
	v_mul_u64_e32 v[4:5], s[0:1], v[0:1]
	s_add_nc_u64 s[10:11], s[12:13], s[10:11]
	s_mul_u64 s[12:13], s[14:15], s[28:29]
	s_add_nc_u64 s[10:11], s[10:11], s[16:17]
	v_add_f32_e32 v6, s35, v3
	s_delay_alu instid0(VALU_DEP_1) | instskip(SKIP_2) | instid1(VALU_DEP_1)
	v_cmp_gt_f32_e32 vcc_lo, 0x800000, v6
	v_mov_b32_e32 v3, v1
	v_mul_f32_e32 v1, 0x4b800000, v6
	v_cndmask_b32_e32 v1, v6, v1, vcc_lo
	s_delay_alu instid0(VALU_DEP_3)
	v_add_nc_u64_e32 v[6:7], s[8:9], v[2:3]
	v_add_nc_u64_e32 v[2:3], s[2:3], v[2:3]
	s_lshl_b64 s[2:3], s[12:13], 2
	s_lshl_b64 s[8:9], s[0:1], 10
	v_rsq_f32_e32 v1, v1
	s_add_nc_u64 s[2:3], s[10:11], s[2:3]
	s_sub_co_i32 s0, 0, s6
	v_nop
	s_delay_alu instid0(TRANS32_DEP_1) | instskip(NEXT) | instid1(VALU_DEP_1)
	v_mul_f32_e32 v8, 0x45800000, v1
	v_cndmask_b32_e32 v1, v1, v8, vcc_lo
.LBB7_8:                                ; =>This Inner Loop Header: Depth=1
	v_add_nc_u32_e32 v8, v0, v5
	v_add_nc_u64_e32 v[4:5], s[8:9], v[4:5]
	s_delay_alu instid0(VALU_DEP_2) | instskip(NEXT) | instid1(VALU_DEP_1)
	v_lshrrev_b32_e32 v8, s5, v8
	v_mad_u32 v8, s0, v8, v0
	v_add_nc_u32_e32 v0, 0x400, v0
	global_load_b32 v9, v[2:3], off
	global_load_b32 v10, v8, s[2:3] scale_offset
	s_wait_xcnt 0x1
	v_add_nc_u64_e32 v[2:3], 0x1000, v[2:3]
	v_cmp_le_i32_e32 vcc_lo, s33, v0
	s_or_b32 s1, vcc_lo, s1
	s_wait_loadcnt 0x1
	s_wait_xcnt 0x0
	v_mul_f32_e32 v8, v1, v9
	s_wait_loadcnt 0x0
	s_delay_alu instid0(VALU_DEP_1)
	v_mul_f32_e32 v8, v8, v10
	global_store_b32 v[6:7], v8, off
	s_wait_xcnt 0x0
	v_add_nc_u64_e32 v[6:7], 0x1000, v[6:7]
	s_and_not1_b32 exec_lo, exec_lo, s1
	s_cbranch_execnz .LBB7_8
.LBB7_9:
	s_endpgm
	.section	.rodata,"a",@progbits
	.p2align	6, 0x0
	.amdhsa_kernel _ZL12rms_norm_f32ILi1024ELb1ELb0EEvPKfPfilllfS1_lll15HIP_vector_typeIjLj3EES4_S4_S4_S1_lllS4_S4_S4_S4_
		.amdhsa_group_segment_fixed_size 0
		.amdhsa_private_segment_fixed_size 0
		.amdhsa_kernarg_size 472
		.amdhsa_user_sgpr_count 2
		.amdhsa_user_sgpr_dispatch_ptr 0
		.amdhsa_user_sgpr_queue_ptr 0
		.amdhsa_user_sgpr_kernarg_segment_ptr 1
		.amdhsa_user_sgpr_dispatch_id 0
		.amdhsa_user_sgpr_kernarg_preload_length 0
		.amdhsa_user_sgpr_kernarg_preload_offset 0
		.amdhsa_user_sgpr_private_segment_size 0
		.amdhsa_wavefront_size32 1
		.amdhsa_uses_dynamic_stack 0
		.amdhsa_enable_private_segment 0
		.amdhsa_system_sgpr_workgroup_id_x 1
		.amdhsa_system_sgpr_workgroup_id_y 1
		.amdhsa_system_sgpr_workgroup_id_z 1
		.amdhsa_system_sgpr_workgroup_info 0
		.amdhsa_system_vgpr_workitem_id 0
		.amdhsa_next_free_vgpr 11
		.amdhsa_next_free_sgpr 44
		.amdhsa_named_barrier_count 0
		.amdhsa_reserve_vcc 1
		.amdhsa_float_round_mode_32 0
		.amdhsa_float_round_mode_16_64 0
		.amdhsa_float_denorm_mode_32 3
		.amdhsa_float_denorm_mode_16_64 3
		.amdhsa_fp16_overflow 0
		.amdhsa_memory_ordered 1
		.amdhsa_forward_progress 1
		.amdhsa_inst_pref_size 10
		.amdhsa_round_robin_scheduling 0
		.amdhsa_exception_fp_ieee_invalid_op 0
		.amdhsa_exception_fp_denorm_src 0
		.amdhsa_exception_fp_ieee_div_zero 0
		.amdhsa_exception_fp_ieee_overflow 0
		.amdhsa_exception_fp_ieee_underflow 0
		.amdhsa_exception_fp_ieee_inexact 0
		.amdhsa_exception_int_div_zero 0
	.end_amdhsa_kernel
	.section	.text._ZL12rms_norm_f32ILi1024ELb1ELb0EEvPKfPfilllfS1_lll15HIP_vector_typeIjLj3EES4_S4_S4_S1_lllS4_S4_S4_S4_,"axG",@progbits,_ZL12rms_norm_f32ILi1024ELb1ELb0EEvPKfPfilllfS1_lll15HIP_vector_typeIjLj3EES4_S4_S4_S1_lllS4_S4_S4_S4_,comdat
.Lfunc_end7:
	.size	_ZL12rms_norm_f32ILi1024ELb1ELb0EEvPKfPfilllfS1_lll15HIP_vector_typeIjLj3EES4_S4_S4_S1_lllS4_S4_S4_S4_, .Lfunc_end7-_ZL12rms_norm_f32ILi1024ELb1ELb0EEvPKfPfilllfS1_lll15HIP_vector_typeIjLj3EES4_S4_S4_S1_lllS4_S4_S4_S4_
                                        ; -- End function
	.set _ZL12rms_norm_f32ILi1024ELb1ELb0EEvPKfPfilllfS1_lll15HIP_vector_typeIjLj3EES4_S4_S4_S1_lllS4_S4_S4_S4_.num_vgpr, 11
	.set _ZL12rms_norm_f32ILi1024ELb1ELb0EEvPKfPfilllfS1_lll15HIP_vector_typeIjLj3EES4_S4_S4_S1_lllS4_S4_S4_S4_.num_agpr, 0
	.set _ZL12rms_norm_f32ILi1024ELb1ELb0EEvPKfPfilllfS1_lll15HIP_vector_typeIjLj3EES4_S4_S4_S1_lllS4_S4_S4_S4_.numbered_sgpr, 44
	.set _ZL12rms_norm_f32ILi1024ELb1ELb0EEvPKfPfilllfS1_lll15HIP_vector_typeIjLj3EES4_S4_S4_S1_lllS4_S4_S4_S4_.num_named_barrier, 0
	.set _ZL12rms_norm_f32ILi1024ELb1ELb0EEvPKfPfilllfS1_lll15HIP_vector_typeIjLj3EES4_S4_S4_S1_lllS4_S4_S4_S4_.private_seg_size, 0
	.set _ZL12rms_norm_f32ILi1024ELb1ELb0EEvPKfPfilllfS1_lll15HIP_vector_typeIjLj3EES4_S4_S4_S1_lllS4_S4_S4_S4_.uses_vcc, 1
	.set _ZL12rms_norm_f32ILi1024ELb1ELb0EEvPKfPfilllfS1_lll15HIP_vector_typeIjLj3EES4_S4_S4_S1_lllS4_S4_S4_S4_.uses_flat_scratch, 0
	.set _ZL12rms_norm_f32ILi1024ELb1ELb0EEvPKfPfilllfS1_lll15HIP_vector_typeIjLj3EES4_S4_S4_S1_lllS4_S4_S4_S4_.has_dyn_sized_stack, 0
	.set _ZL12rms_norm_f32ILi1024ELb1ELb0EEvPKfPfilllfS1_lll15HIP_vector_typeIjLj3EES4_S4_S4_S1_lllS4_S4_S4_S4_.has_recursion, 0
	.set _ZL12rms_norm_f32ILi1024ELb1ELb0EEvPKfPfilllfS1_lll15HIP_vector_typeIjLj3EES4_S4_S4_S1_lllS4_S4_S4_S4_.has_indirect_call, 0
	.section	.AMDGPU.csdata,"",@progbits
; Kernel info:
; codeLenInByte = 1256
; TotalNumSgprs: 46
; NumVgprs: 11
; ScratchSize: 0
; MemoryBound: 0
; FloatMode: 240
; IeeeMode: 1
; LDSByteSize: 0 bytes/workgroup (compile time only)
; SGPRBlocks: 0
; VGPRBlocks: 0
; NumSGPRsForWavesPerEU: 46
; NumVGPRsForWavesPerEU: 11
; NamedBarCnt: 0
; Occupancy: 16
; WaveLimiterHint : 0
; COMPUTE_PGM_RSRC2:SCRATCH_EN: 0
; COMPUTE_PGM_RSRC2:USER_SGPR: 2
; COMPUTE_PGM_RSRC2:TRAP_HANDLER: 0
; COMPUTE_PGM_RSRC2:TGID_X_EN: 1
; COMPUTE_PGM_RSRC2:TGID_Y_EN: 1
; COMPUTE_PGM_RSRC2:TGID_Z_EN: 1
; COMPUTE_PGM_RSRC2:TIDIG_COMP_CNT: 0
	.section	.text._ZL12rms_norm_f32ILi256ELb1ELb1EEvPKfPfilllfS1_lll15HIP_vector_typeIjLj3EES4_S4_S4_S1_lllS4_S4_S4_S4_,"axG",@progbits,_ZL12rms_norm_f32ILi256ELb1ELb1EEvPKfPfilllfS1_lll15HIP_vector_typeIjLj3EES4_S4_S4_S1_lllS4_S4_S4_S4_,comdat
	.globl	_ZL12rms_norm_f32ILi256ELb1ELb1EEvPKfPfilllfS1_lll15HIP_vector_typeIjLj3EES4_S4_S4_S1_lllS4_S4_S4_S4_ ; -- Begin function _ZL12rms_norm_f32ILi256ELb1ELb1EEvPKfPfilllfS1_lll15HIP_vector_typeIjLj3EES4_S4_S4_S1_lllS4_S4_S4_S4_
	.p2align	8
	.type	_ZL12rms_norm_f32ILi256ELb1ELb1EEvPKfPfilllfS1_lll15HIP_vector_typeIjLj3EES4_S4_S4_S1_lllS4_S4_S4_S4_,@function
_ZL12rms_norm_f32ILi256ELb1ELb1EEvPKfPfilllfS1_lll15HIP_vector_typeIjLj3EES4_S4_S4_S1_lllS4_S4_S4_S4_: ; @_ZL12rms_norm_f32ILi256ELb1ELb1EEvPKfPfilllfS1_lll15HIP_vector_typeIjLj3EES4_S4_S4_S1_lllS4_S4_S4_S4_
; %bb.0:
	s_clause 0x8
	s_load_b128 s[28:31], s[0:1], 0x0
	s_load_b32 s33, s[0:1], 0x10
	s_load_b128 s[20:23], s[0:1], 0x18
	s_load_b64 s[2:3], s[0:1], 0x28
	s_load_b128 s[44:47], s[0:1], 0x78
	s_load_b256 s[4:11], s[0:1], 0x58
	s_load_b256 s[12:19], s[0:1], 0xa8
	s_load_b128 s[48:51], s[0:1], 0xc8
	s_load_b64 s[62:63], s[0:1], 0xd8
	s_bfe_u32 s24, ttmp6, 0x40014
	s_lshr_b32 s25, ttmp7, 16
	s_add_co_i32 s24, s24, 1
	s_bfe_u32 s27, ttmp6, 0x40010
	s_mul_i32 s24, s25, s24
	s_bfe_u32 s26, ttmp6, 0x40008
	s_and_b32 s34, ttmp7, 0xffff
	s_add_co_i32 s27, s27, 1
	s_bfe_u32 s35, ttmp6, 0x4000c
	s_add_co_i32 s26, s26, s24
	s_mul_i32 s24, s34, s27
	s_bfe_u32 s27, ttmp6, 0x40004
	s_add_co_i32 s35, s35, 1
	s_add_co_i32 s27, s27, s24
	s_and_b32 s24, ttmp6, 15
	s_mul_i32 s35, ttmp9, s35
	s_getreg_b32 s36, hwreg(HW_REG_IB_STS2, 6, 4)
	s_add_co_i32 s24, s24, s35
	s_cmp_eq_u32 s36, 0
	s_mov_b32 s57, 0
	s_cselect_b32 s60, ttmp9, s24
	s_wait_kmcnt 0x0
	v_cmp_gt_i32_e32 vcc_lo, s33, v0
	v_dual_mov_b32 v3, 0 :: v_dual_lshlrev_b32 v2, 2, v0
	s_cselect_b32 s58, s34, s27
	s_cselect_b32 s56, s25, s26
	s_mov_b32 s59, s57
	s_ashr_i32 s61, s60, 31
	s_mul_u64 s[52:53], s[2:3], s[56:57]
	s_mul_u64 s[54:55], s[22:23], s[58:59]
	;; [unrolled: 1-line block ×3, first 2 shown]
	s_and_saveexec_b32 s3, vcc_lo
	s_cbranch_execz .LBB8_4
; %bb.1:
	s_lshl_b64 s[20:21], s[52:53], 2
	s_lshl_b64 s[22:23], s[54:55], 2
	v_dual_mov_b32 v3, 0 :: v_dual_mov_b32 v1, v0
	s_add_nc_u64 s[20:21], s[20:21], s[22:23]
	s_lshl_b64 s[22:23], s[34:35], 2
	s_delay_alu instid0(SALU_CYCLE_1) | instskip(NEXT) | instid1(SALU_CYCLE_1)
	s_add_nc_u64 s[20:21], s[20:21], s[22:23]
	s_add_nc_u64 s[20:21], s[28:29], s[20:21]
	s_delay_alu instid0(SALU_CYCLE_1)
	v_add_nc_u64_e32 v[4:5], s[20:21], v[2:3]
.LBB8_2:                                ; =>This Inner Loop Header: Depth=1
	global_load_b32 v6, v[4:5], off
	v_add_nc_u32_e32 v1, 0x100, v1
	s_wait_xcnt 0x0
	v_add_nc_u64_e32 v[4:5], 0x400, v[4:5]
	s_delay_alu instid0(VALU_DEP_2)
	v_cmp_le_i32_e64 s2, s33, v1
	s_or_b32 s57, s2, s57
	s_wait_loadcnt 0x0
	v_fmac_f32_e32 v3, v6, v6
	s_and_not1_b32 exec_lo, exec_lo, s57
	s_cbranch_execnz .LBB8_2
; %bb.3:
	s_or_b32 exec_lo, exec_lo, s57
.LBB8_4:
	s_delay_alu instid0(SALU_CYCLE_1) | instskip(SKIP_2) | instid1(VALU_DEP_1)
	s_or_b32 exec_lo, exec_lo, s3
	v_mbcnt_lo_u32_b32 v6, -1, 0
	s_mov_b32 s3, exec_lo
	v_xor_b32_e32 v4, 8, v6
	v_xor_b32_e32 v1, 16, v6
	v_xor_b32_e32 v9, 1, v6
	s_delay_alu instid0(VALU_DEP_2) | instskip(NEXT) | instid1(VALU_DEP_1)
	v_cmp_gt_i32_e64 s2, 32, v1
	v_cndmask_b32_e64 v1, v6, v1, s2
	v_cmp_gt_i32_e64 s2, 32, v4
	s_delay_alu instid0(VALU_DEP_1) | instskip(NEXT) | instid1(VALU_DEP_1)
	v_cndmask_b32_e64 v4, v6, v4, s2
	v_dual_lshlrev_b32 v4, 2, v4 :: v_dual_lshlrev_b32 v1, 2, v1
	ds_bpermute_b32 v5, v1, v3
	s_wait_dscnt 0x0
	v_dual_add_f32 v5, v3, v5 :: v_dual_bitop2_b32 v3, 4, v6 bitop3:0x14
	ds_bpermute_b32 v7, v4, v5
	v_cmp_gt_i32_e64 s2, 32, v3
	s_delay_alu instid0(VALU_DEP_1) | instskip(SKIP_2) | instid1(VALU_DEP_1)
	v_cndmask_b32_e64 v3, v6, v3, s2
	s_wait_dscnt 0x0
	v_dual_add_f32 v7, v5, v7 :: v_dual_bitop2_b32 v5, 2, v6 bitop3:0x14
	v_cmp_gt_i32_e64 s2, 32, v5
	s_delay_alu instid0(VALU_DEP_1) | instskip(SKIP_1) | instid1(VALU_DEP_2)
	v_dual_lshlrev_b32 v3, 2, v3 :: v_dual_cndmask_b32 v5, v6, v5, s2
	v_cmp_gt_i32_e64 s2, 32, v9
	v_lshlrev_b32_e32 v5, 2, v5
	ds_bpermute_b32 v8, v3, v7
	s_wait_dscnt 0x0
	v_add_f32_e32 v7, v7, v8
	ds_bpermute_b32 v8, v5, v7
	s_wait_dscnt 0x0
	v_dual_cndmask_b32 v6, v6, v9, s2 :: v_dual_add_f32 v8, v7, v8
	s_delay_alu instid0(VALU_DEP_1)
	v_dual_lshlrev_b32 v6, 2, v6 :: v_dual_bitop2_b32 v7, 31, v0 bitop3:0x40
	ds_bpermute_b32 v9, v6, v8
	v_cmpx_eq_u32_e32 0, v7
	s_cbranch_execz .LBB8_6
; %bb.5:
	s_wait_dscnt 0x0
	v_dual_lshrrev_b32 v10, 3, v0 :: v_dual_add_f32 v8, v8, v9
	s_delay_alu instid0(VALU_DEP_1)
	v_add_nc_u32_e32 v9, 0, v10
	ds_store_b32 v9, v8
.LBB8_6:
	s_or_b32 exec_lo, exec_lo, s3
	v_mov_b32_e32 v8, 0
	s_mov_b32 s3, exec_lo
	s_wait_dscnt 0x0
	s_barrier_signal -1
	s_barrier_wait -1
	v_cmpx_gt_u32_e32 8, v7
; %bb.7:
	v_lshl_add_u32 v7, v7, 2, 0
	ds_load_b32 v8, v7
; %bb.8:
	s_or_b32 exec_lo, exec_lo, s3
	s_wait_dscnt 0x0
	ds_bpermute_b32 v1, v1, v8
	s_wait_dscnt 0x0
	v_add_f32_e32 v1, v8, v1
	ds_bpermute_b32 v4, v4, v1
	s_wait_dscnt 0x0
	v_add_f32_e32 v1, v1, v4
	;; [unrolled: 3-line block ×4, first 2 shown]
	ds_bpermute_b32 v3, v6, v1
	s_and_saveexec_b32 s2, vcc_lo
	s_cbranch_execz .LBB8_11
; %bb.9:
	s_wait_dscnt 0x0
	v_dual_add_f32 v3, v1, v3 :: v_dual_mov_b32 v1, 0
	s_cvt_f32_i32 s2, s33
	s_clause 0x2
	s_load_b32 s57, s[0:1], 0x30
	s_load_b256 s[20:27], s[0:1], 0x38
	s_load_b256 s[36:43], s[0:1], 0x88
	s_wait_xcnt 0x0
	s_mul_i32 s0, s63, s56
	v_div_scale_f32 v4, null, s2, s2, v3
	v_div_scale_f32 v7, vcc_lo, v3, s2, v3
	s_mul_hi_u32 s3, s7, s60
	v_rcp_f32_e32 v6, v4
	s_mul_hi_u32 s45, s45, s56
	s_mul_hi_u32 s7, s10, s58
	;; [unrolled: 1-line block ×3, first 2 shown]
	s_mov_b32 s10, s12
	s_add_co_i32 s0, s0, s58
	s_add_co_i32 s12, s60, s3
	v_nop
	v_fma_f32 v5, -v4, v6, 1.0
	s_add_co_i32 s59, s56, s45
	s_mul_hi_u32 s15, s15, s60
	s_mul_hi_u32 s18, s18, s58
	s_add_co_i32 s49, s56, s49
	v_fmac_f32_e32 v6, v5, v6
	s_mul_i32 s0, s0, s62
	s_lshr_b32 s8, s12, s8
	s_lshr_b32 s12, s59, s46
	s_add_co_i32 s15, s60, s15
	v_mul_f32_e32 v8, v7, v6
	s_add_co_i32 s18, s58, s18
	s_add_co_i32 s0, s0, s60
	s_mul_i32 s9, s8, s9
	s_lshr_b32 s8, s49, s50
	v_fma_f32 v5, -v4, v8, v7
	s_mul_i32 s12, s12, s47
	s_mov_b32 s1, 0
	s_add_co_i32 s7, s58, s7
	s_lshr_b32 s15, s15, s16
	v_fmac_f32_e32 v8, v5, v6
	s_lshr_b32 s16, s18, s19
	s_mul_i32 s19, s8, s51
	s_mul_i32 s8, s0, s33
	s_sub_co_i32 s0, s56, s12
	v_fma_f32 v7, -v4, v8, v7
	s_lshr_b32 s7, s7, s11
	s_mov_b32 s11, s1
	s_wait_kmcnt 0x0
	s_mul_u64 s[26:27], s[26:27], s[0:1]
	s_mov_b32 s0, s4
	v_div_fmas_f32 v6, v7, v6, v8
	v_mul_u64_e32 v[4:5], s[10:11], v[0:1]
	s_mul_i32 s7, s7, s44
	s_mov_b32 s3, s1
	s_mul_i32 s15, s15, s17
	v_div_fixup_f32 v3, v6, s2, v3
	s_mul_i32 s17, s16, s48
	s_sub_co_i32 s2, s58, s7
	s_sub_co_i32 s46, s56, s19
	;; [unrolled: 1-line block ×3, first 2 shown]
	v_add_f32_e32 v3, s57, v3
	s_ashr_i32 s47, s46, 31
	s_mul_u64 s[2:3], s[24:25], s[2:3]
	s_lshl_b64 s[26:27], s[26:27], 2
	s_mov_b32 s45, s1
	v_mul_f32_e32 v6, 0x4b800000, v3
	v_cmp_gt_f32_e32 vcc_lo, 0x800000, v3
	s_sub_co_i32 s44, s60, s9
	s_ashr_i32 s19, s18, 31
	s_mul_u64 s[24:25], s[42:43], s[46:47]
	s_lshl_b64 s[2:3], s[2:3], 2
	v_cndmask_b32_e32 v3, v3, v6, vcc_lo
	v_mul_u64_e32 v[6:7], s[0:1], v[0:1]
	s_add_nc_u64 s[20:21], s[20:21], s[26:27]
	s_mul_u64 s[22:23], s[22:23], s[44:45]
	s_mul_u64 s[18:19], s[40:41], s[18:19]
	v_rsq_f32_e32 v3, v3
	s_add_nc_u64 s[2:3], s[20:21], s[2:3]
	s_lshl_b64 s[20:21], s[24:25], 2
	s_lshl_b64 s[22:23], s[22:23], 2
	s_add_nc_u64 s[20:21], s[36:37], s[20:21]
	s_lshl_b64 s[18:19], s[18:19], 2
	s_add_nc_u64 s[2:3], s[2:3], s[22:23]
	v_nop
	v_mul_f32_e32 v8, 0x45800000, v3
	s_add_nc_u64 s[18:19], s[20:21], s[18:19]
	s_lshl_b64 s[20:21], s[52:53], 2
	s_lshl_b64 s[22:23], s[54:55], 2
	s_ashr_i32 s9, s8, 31
	s_add_nc_u64 s[20:21], s[20:21], s[22:23]
	s_lshl_b64 s[22:23], s[34:35], 2
	v_dual_cndmask_b32 v10, v3, v8 :: v_dual_mov_b32 v3, v1
	s_lshl_b64 s[8:9], s[8:9], 2
	s_add_nc_u64 s[20:21], s[20:21], s[22:23]
	s_sub_co_i32 s16, s60, s15
	s_add_nc_u64 s[8:9], s[30:31], s[8:9]
	s_add_nc_u64 s[20:21], s[28:29], s[20:21]
	s_ashr_i32 s17, s16, 31
	v_add_nc_u64_e32 v[8:9], s[8:9], v[2:3]
	v_add_nc_u64_e32 v[2:3], s[20:21], v[2:3]
	s_mul_u64 s[16:17], s[38:39], s[16:17]
	s_lshl_b64 s[10:11], s[10:11], 8
	s_lshl_b64 s[16:17], s[16:17], 2
	s_sub_co_i32 s4, 0, s14
	s_add_nc_u64 s[8:9], s[18:19], s[16:17]
	s_lshl_b64 s[16:17], s[0:1], 8
	s_sub_co_i32 s0, 0, s6
.LBB8_10:                               ; =>This Inner Loop Header: Depth=1
	v_dual_add_nc_u32 v1, v0, v7 :: v_dual_add_nc_u32 v11, v0, v5
	v_add_nc_u64_e32 v[4:5], s[10:11], v[4:5]
	v_add_nc_u64_e32 v[6:7], s[16:17], v[6:7]
	s_delay_alu instid0(VALU_DEP_3) | instskip(NEXT) | instid1(VALU_DEP_1)
	v_dual_lshrrev_b32 v1, s5, v1 :: v_dual_lshrrev_b32 v11, s13, v11
	v_mad_u32 v1, s0, v1, v0
	s_delay_alu instid0(VALU_DEP_2)
	v_mad_u32 v11, s4, v11, v0
	v_add_nc_u32_e32 v0, 0x100, v0
	global_load_b32 v12, v[2:3], off
	global_load_b32 v13, v1, s[2:3] scale_offset
	global_load_b32 v14, v11, s[8:9] scale_offset
	s_wait_xcnt 0x2
	v_add_nc_u64_e32 v[2:3], 0x400, v[2:3]
	v_cmp_le_i32_e32 vcc_lo, s33, v0
	s_or_b32 s1, vcc_lo, s1
	s_wait_loadcnt 0x2
	s_wait_xcnt 0x1
	v_mul_f32_e32 v1, v10, v12
	s_wait_loadcnt 0x0
	s_delay_alu instid0(VALU_DEP_1)
	v_fmac_f32_e32 v14, v1, v13
	global_store_b32 v[8:9], v14, off
	s_wait_xcnt 0x0
	v_add_nc_u64_e32 v[8:9], 0x400, v[8:9]
	s_and_not1_b32 exec_lo, exec_lo, s1
	s_cbranch_execnz .LBB8_10
.LBB8_11:
	s_endpgm
	.section	.rodata,"a",@progbits
	.p2align	6, 0x0
	.amdhsa_kernel _ZL12rms_norm_f32ILi256ELb1ELb1EEvPKfPfilllfS1_lll15HIP_vector_typeIjLj3EES4_S4_S4_S1_lllS4_S4_S4_S4_
		.amdhsa_group_segment_fixed_size 0
		.amdhsa_private_segment_fixed_size 0
		.amdhsa_kernarg_size 472
		.amdhsa_user_sgpr_count 2
		.amdhsa_user_sgpr_dispatch_ptr 0
		.amdhsa_user_sgpr_queue_ptr 0
		.amdhsa_user_sgpr_kernarg_segment_ptr 1
		.amdhsa_user_sgpr_dispatch_id 0
		.amdhsa_user_sgpr_kernarg_preload_length 0
		.amdhsa_user_sgpr_kernarg_preload_offset 0
		.amdhsa_user_sgpr_private_segment_size 0
		.amdhsa_wavefront_size32 1
		.amdhsa_uses_dynamic_stack 0
		.amdhsa_enable_private_segment 0
		.amdhsa_system_sgpr_workgroup_id_x 1
		.amdhsa_system_sgpr_workgroup_id_y 1
		.amdhsa_system_sgpr_workgroup_id_z 1
		.amdhsa_system_sgpr_workgroup_info 0
		.amdhsa_system_vgpr_workitem_id 0
		.amdhsa_next_free_vgpr 15
		.amdhsa_next_free_sgpr 64
		.amdhsa_named_barrier_count 0
		.amdhsa_reserve_vcc 1
		.amdhsa_float_round_mode_32 0
		.amdhsa_float_round_mode_16_64 0
		.amdhsa_float_denorm_mode_32 3
		.amdhsa_float_denorm_mode_16_64 3
		.amdhsa_fp16_overflow 0
		.amdhsa_memory_ordered 1
		.amdhsa_forward_progress 1
		.amdhsa_inst_pref_size 12
		.amdhsa_round_robin_scheduling 0
		.amdhsa_exception_fp_ieee_invalid_op 0
		.amdhsa_exception_fp_denorm_src 0
		.amdhsa_exception_fp_ieee_div_zero 0
		.amdhsa_exception_fp_ieee_overflow 0
		.amdhsa_exception_fp_ieee_underflow 0
		.amdhsa_exception_fp_ieee_inexact 0
		.amdhsa_exception_int_div_zero 0
	.end_amdhsa_kernel
	.section	.text._ZL12rms_norm_f32ILi256ELb1ELb1EEvPKfPfilllfS1_lll15HIP_vector_typeIjLj3EES4_S4_S4_S1_lllS4_S4_S4_S4_,"axG",@progbits,_ZL12rms_norm_f32ILi256ELb1ELb1EEvPKfPfilllfS1_lll15HIP_vector_typeIjLj3EES4_S4_S4_S1_lllS4_S4_S4_S4_,comdat
.Lfunc_end8:
	.size	_ZL12rms_norm_f32ILi256ELb1ELb1EEvPKfPfilllfS1_lll15HIP_vector_typeIjLj3EES4_S4_S4_S1_lllS4_S4_S4_S4_, .Lfunc_end8-_ZL12rms_norm_f32ILi256ELb1ELb1EEvPKfPfilllfS1_lll15HIP_vector_typeIjLj3EES4_S4_S4_S1_lllS4_S4_S4_S4_
                                        ; -- End function
	.set _ZL12rms_norm_f32ILi256ELb1ELb1EEvPKfPfilllfS1_lll15HIP_vector_typeIjLj3EES4_S4_S4_S1_lllS4_S4_S4_S4_.num_vgpr, 15
	.set _ZL12rms_norm_f32ILi256ELb1ELb1EEvPKfPfilllfS1_lll15HIP_vector_typeIjLj3EES4_S4_S4_S1_lllS4_S4_S4_S4_.num_agpr, 0
	.set _ZL12rms_norm_f32ILi256ELb1ELb1EEvPKfPfilllfS1_lll15HIP_vector_typeIjLj3EES4_S4_S4_S1_lllS4_S4_S4_S4_.numbered_sgpr, 64
	.set _ZL12rms_norm_f32ILi256ELb1ELb1EEvPKfPfilllfS1_lll15HIP_vector_typeIjLj3EES4_S4_S4_S1_lllS4_S4_S4_S4_.num_named_barrier, 0
	.set _ZL12rms_norm_f32ILi256ELb1ELb1EEvPKfPfilllfS1_lll15HIP_vector_typeIjLj3EES4_S4_S4_S1_lllS4_S4_S4_S4_.private_seg_size, 0
	.set _ZL12rms_norm_f32ILi256ELb1ELb1EEvPKfPfilllfS1_lll15HIP_vector_typeIjLj3EES4_S4_S4_S1_lllS4_S4_S4_S4_.uses_vcc, 1
	.set _ZL12rms_norm_f32ILi256ELb1ELb1EEvPKfPfilllfS1_lll15HIP_vector_typeIjLj3EES4_S4_S4_S1_lllS4_S4_S4_S4_.uses_flat_scratch, 0
	.set _ZL12rms_norm_f32ILi256ELb1ELb1EEvPKfPfilllfS1_lll15HIP_vector_typeIjLj3EES4_S4_S4_S1_lllS4_S4_S4_S4_.has_dyn_sized_stack, 0
	.set _ZL12rms_norm_f32ILi256ELb1ELb1EEvPKfPfilllfS1_lll15HIP_vector_typeIjLj3EES4_S4_S4_S1_lllS4_S4_S4_S4_.has_recursion, 0
	.set _ZL12rms_norm_f32ILi256ELb1ELb1EEvPKfPfilllfS1_lll15HIP_vector_typeIjLj3EES4_S4_S4_S1_lllS4_S4_S4_S4_.has_indirect_call, 0
	.section	.AMDGPU.csdata,"",@progbits
; Kernel info:
; codeLenInByte = 1452
; TotalNumSgprs: 66
; NumVgprs: 15
; ScratchSize: 0
; MemoryBound: 0
; FloatMode: 240
; IeeeMode: 1
; LDSByteSize: 0 bytes/workgroup (compile time only)
; SGPRBlocks: 0
; VGPRBlocks: 0
; NumSGPRsForWavesPerEU: 66
; NumVGPRsForWavesPerEU: 15
; NamedBarCnt: 0
; Occupancy: 16
; WaveLimiterHint : 1
; COMPUTE_PGM_RSRC2:SCRATCH_EN: 0
; COMPUTE_PGM_RSRC2:USER_SGPR: 2
; COMPUTE_PGM_RSRC2:TRAP_HANDLER: 0
; COMPUTE_PGM_RSRC2:TGID_X_EN: 1
; COMPUTE_PGM_RSRC2:TGID_Y_EN: 1
; COMPUTE_PGM_RSRC2:TGID_Z_EN: 1
; COMPUTE_PGM_RSRC2:TIDIG_COMP_CNT: 0
	.section	.text._ZL12rms_norm_f32ILi1024ELb1ELb1EEvPKfPfilllfS1_lll15HIP_vector_typeIjLj3EES4_S4_S4_S1_lllS4_S4_S4_S4_,"axG",@progbits,_ZL12rms_norm_f32ILi1024ELb1ELb1EEvPKfPfilllfS1_lll15HIP_vector_typeIjLj3EES4_S4_S4_S1_lllS4_S4_S4_S4_,comdat
	.globl	_ZL12rms_norm_f32ILi1024ELb1ELb1EEvPKfPfilllfS1_lll15HIP_vector_typeIjLj3EES4_S4_S4_S1_lllS4_S4_S4_S4_ ; -- Begin function _ZL12rms_norm_f32ILi1024ELb1ELb1EEvPKfPfilllfS1_lll15HIP_vector_typeIjLj3EES4_S4_S4_S1_lllS4_S4_S4_S4_
	.p2align	8
	.type	_ZL12rms_norm_f32ILi1024ELb1ELb1EEvPKfPfilllfS1_lll15HIP_vector_typeIjLj3EES4_S4_S4_S1_lllS4_S4_S4_S4_,@function
_ZL12rms_norm_f32ILi1024ELb1ELb1EEvPKfPfilllfS1_lll15HIP_vector_typeIjLj3EES4_S4_S4_S1_lllS4_S4_S4_S4_: ; @_ZL12rms_norm_f32ILi1024ELb1ELb1EEvPKfPfilllfS1_lll15HIP_vector_typeIjLj3EES4_S4_S4_S1_lllS4_S4_S4_S4_
; %bb.0:
	s_clause 0x8
	s_load_b128 s[28:31], s[0:1], 0x0
	s_load_b32 s33, s[0:1], 0x10
	s_load_b128 s[20:23], s[0:1], 0x18
	s_load_b64 s[2:3], s[0:1], 0x28
	s_load_b128 s[44:47], s[0:1], 0x78
	s_load_b256 s[4:11], s[0:1], 0x58
	s_load_b256 s[12:19], s[0:1], 0xa8
	s_load_b128 s[48:51], s[0:1], 0xc8
	s_load_b64 s[62:63], s[0:1], 0xd8
	s_bfe_u32 s24, ttmp6, 0x40014
	s_lshr_b32 s25, ttmp7, 16
	s_add_co_i32 s24, s24, 1
	s_bfe_u32 s27, ttmp6, 0x40010
	s_mul_i32 s24, s25, s24
	s_bfe_u32 s26, ttmp6, 0x40008
	s_and_b32 s34, ttmp7, 0xffff
	s_add_co_i32 s27, s27, 1
	s_bfe_u32 s35, ttmp6, 0x4000c
	s_add_co_i32 s26, s26, s24
	s_mul_i32 s24, s34, s27
	s_bfe_u32 s27, ttmp6, 0x40004
	s_add_co_i32 s35, s35, 1
	s_add_co_i32 s27, s27, s24
	s_and_b32 s24, ttmp6, 15
	s_mul_i32 s35, ttmp9, s35
	s_getreg_b32 s36, hwreg(HW_REG_IB_STS2, 6, 4)
	s_add_co_i32 s24, s24, s35
	s_cmp_eq_u32 s36, 0
	s_mov_b32 s57, 0
	s_cselect_b32 s60, ttmp9, s24
	s_wait_kmcnt 0x0
	v_cmp_gt_i32_e32 vcc_lo, s33, v0
	v_dual_mov_b32 v3, 0 :: v_dual_lshlrev_b32 v2, 2, v0
	s_cselect_b32 s58, s34, s27
	s_cselect_b32 s56, s25, s26
	s_mov_b32 s59, s57
	s_ashr_i32 s61, s60, 31
	s_mul_u64 s[52:53], s[2:3], s[56:57]
	s_mul_u64 s[54:55], s[22:23], s[58:59]
	;; [unrolled: 1-line block ×3, first 2 shown]
	s_and_saveexec_b32 s3, vcc_lo
	s_cbranch_execz .LBB9_4
; %bb.1:
	s_lshl_b64 s[20:21], s[52:53], 2
	s_lshl_b64 s[22:23], s[54:55], 2
	v_dual_mov_b32 v3, 0 :: v_dual_mov_b32 v1, v0
	s_add_nc_u64 s[20:21], s[20:21], s[22:23]
	s_lshl_b64 s[22:23], s[34:35], 2
	s_delay_alu instid0(SALU_CYCLE_1) | instskip(NEXT) | instid1(SALU_CYCLE_1)
	s_add_nc_u64 s[20:21], s[20:21], s[22:23]
	s_add_nc_u64 s[20:21], s[28:29], s[20:21]
	s_delay_alu instid0(SALU_CYCLE_1)
	v_add_nc_u64_e32 v[4:5], s[20:21], v[2:3]
.LBB9_2:                                ; =>This Inner Loop Header: Depth=1
	global_load_b32 v6, v[4:5], off
	v_add_nc_u32_e32 v1, 0x400, v1
	s_wait_xcnt 0x0
	v_add_nc_u64_e32 v[4:5], 0x1000, v[4:5]
	s_delay_alu instid0(VALU_DEP_2)
	v_cmp_le_i32_e64 s2, s33, v1
	s_or_b32 s57, s2, s57
	s_wait_loadcnt 0x0
	v_fmac_f32_e32 v3, v6, v6
	s_and_not1_b32 exec_lo, exec_lo, s57
	s_cbranch_execnz .LBB9_2
; %bb.3:
	s_or_b32 exec_lo, exec_lo, s57
.LBB9_4:
	s_delay_alu instid0(SALU_CYCLE_1) | instskip(SKIP_2) | instid1(VALU_DEP_1)
	s_or_b32 exec_lo, exec_lo, s3
	v_mbcnt_lo_u32_b32 v6, -1, 0
	s_mov_b32 s3, exec_lo
	v_xor_b32_e32 v4, 8, v6
	v_xor_b32_e32 v1, 16, v6
	;; [unrolled: 1-line block ×3, first 2 shown]
	s_delay_alu instid0(VALU_DEP_2) | instskip(NEXT) | instid1(VALU_DEP_1)
	v_cmp_gt_i32_e64 s2, 32, v1
	v_cndmask_b32_e64 v1, v6, v1, s2
	v_cmp_gt_i32_e64 s2, 32, v4
	s_delay_alu instid0(VALU_DEP_1) | instskip(NEXT) | instid1(VALU_DEP_1)
	v_cndmask_b32_e64 v4, v6, v4, s2
	v_dual_lshlrev_b32 v4, 2, v4 :: v_dual_lshlrev_b32 v1, 2, v1
	ds_bpermute_b32 v5, v1, v3
	s_wait_dscnt 0x0
	v_dual_add_f32 v5, v3, v5 :: v_dual_bitop2_b32 v3, 4, v6 bitop3:0x14
	ds_bpermute_b32 v7, v4, v5
	v_cmp_gt_i32_e64 s2, 32, v3
	s_delay_alu instid0(VALU_DEP_1) | instskip(SKIP_2) | instid1(VALU_DEP_1)
	v_cndmask_b32_e64 v3, v6, v3, s2
	s_wait_dscnt 0x0
	v_dual_add_f32 v7, v5, v7 :: v_dual_bitop2_b32 v5, 2, v6 bitop3:0x14
	v_cmp_gt_i32_e64 s2, 32, v5
	s_delay_alu instid0(VALU_DEP_1) | instskip(SKIP_1) | instid1(VALU_DEP_2)
	v_dual_lshlrev_b32 v3, 2, v3 :: v_dual_cndmask_b32 v5, v6, v5, s2
	v_cmp_gt_i32_e64 s2, 32, v9
	v_lshlrev_b32_e32 v5, 2, v5
	ds_bpermute_b32 v8, v3, v7
	s_wait_dscnt 0x0
	v_add_f32_e32 v7, v7, v8
	ds_bpermute_b32 v8, v5, v7
	s_wait_dscnt 0x0
	v_dual_cndmask_b32 v6, v6, v9, s2 :: v_dual_add_f32 v8, v7, v8
	s_delay_alu instid0(VALU_DEP_1)
	v_dual_lshlrev_b32 v6, 2, v6 :: v_dual_bitop2_b32 v7, 31, v0 bitop3:0x40
	ds_bpermute_b32 v9, v6, v8
	v_cmpx_eq_u32_e32 0, v7
	s_cbranch_execz .LBB9_6
; %bb.5:
	s_wait_dscnt 0x0
	v_dual_lshrrev_b32 v10, 3, v0 :: v_dual_add_f32 v8, v8, v9
	s_delay_alu instid0(VALU_DEP_1)
	v_add_nc_u32_e32 v9, 0, v10
	ds_store_b32 v9, v8
.LBB9_6:
	s_or_b32 exec_lo, exec_lo, s3
	v_lshl_add_u32 v7, v7, 2, 0
	s_wait_dscnt 0x0
	s_barrier_signal -1
	s_barrier_wait -1
	ds_load_b32 v7, v7
	s_wait_dscnt 0x0
	ds_bpermute_b32 v1, v1, v7
	s_wait_dscnt 0x0
	v_add_f32_e32 v1, v7, v1
	ds_bpermute_b32 v4, v4, v1
	s_wait_dscnt 0x0
	v_add_f32_e32 v1, v1, v4
	;; [unrolled: 3-line block ×4, first 2 shown]
	ds_bpermute_b32 v3, v6, v1
	s_and_saveexec_b32 s2, vcc_lo
	s_cbranch_execz .LBB9_9
; %bb.7:
	s_wait_dscnt 0x0
	v_dual_add_f32 v3, v1, v3 :: v_dual_mov_b32 v1, 0
	s_cvt_f32_i32 s2, s33
	s_clause 0x2
	s_load_b32 s57, s[0:1], 0x30
	s_load_b256 s[20:27], s[0:1], 0x38
	s_load_b256 s[36:43], s[0:1], 0x88
	s_wait_xcnt 0x0
	s_mul_i32 s0, s63, s56
	v_div_scale_f32 v4, null, s2, s2, v3
	v_div_scale_f32 v7, vcc_lo, v3, s2, v3
	s_mul_hi_u32 s3, s7, s60
	v_rcp_f32_e32 v6, v4
	s_mul_hi_u32 s45, s45, s56
	s_mul_hi_u32 s7, s10, s58
	;; [unrolled: 1-line block ×3, first 2 shown]
	s_mov_b32 s10, s12
	s_add_co_i32 s0, s0, s58
	s_add_co_i32 s12, s60, s3
	v_nop
	v_fma_f32 v5, -v4, v6, 1.0
	s_add_co_i32 s59, s56, s45
	s_mul_hi_u32 s15, s15, s60
	s_mul_hi_u32 s18, s18, s58
	s_add_co_i32 s49, s56, s49
	v_fmac_f32_e32 v6, v5, v6
	s_mul_i32 s0, s0, s62
	s_lshr_b32 s8, s12, s8
	s_lshr_b32 s12, s59, s46
	s_add_co_i32 s15, s60, s15
	v_mul_f32_e32 v8, v7, v6
	s_add_co_i32 s18, s58, s18
	s_add_co_i32 s0, s0, s60
	s_mul_i32 s9, s8, s9
	s_lshr_b32 s8, s49, s50
	v_fma_f32 v5, -v4, v8, v7
	s_mul_i32 s12, s12, s47
	s_mov_b32 s1, 0
	s_add_co_i32 s7, s58, s7
	s_lshr_b32 s15, s15, s16
	v_fmac_f32_e32 v8, v5, v6
	s_lshr_b32 s16, s18, s19
	s_mul_i32 s19, s8, s51
	s_mul_i32 s8, s0, s33
	s_sub_co_i32 s0, s56, s12
	v_fma_f32 v7, -v4, v8, v7
	s_lshr_b32 s7, s7, s11
	s_mov_b32 s11, s1
	s_wait_kmcnt 0x0
	s_mul_u64 s[26:27], s[26:27], s[0:1]
	s_mov_b32 s0, s4
	v_div_fmas_f32 v6, v7, v6, v8
	v_mul_u64_e32 v[4:5], s[10:11], v[0:1]
	s_mul_i32 s7, s7, s44
	s_mov_b32 s3, s1
	s_mul_i32 s15, s15, s17
	v_div_fixup_f32 v3, v6, s2, v3
	s_mul_i32 s17, s16, s48
	s_sub_co_i32 s2, s58, s7
	s_sub_co_i32 s46, s56, s19
	;; [unrolled: 1-line block ×3, first 2 shown]
	v_add_f32_e32 v3, s57, v3
	s_ashr_i32 s47, s46, 31
	s_mul_u64 s[2:3], s[24:25], s[2:3]
	s_lshl_b64 s[26:27], s[26:27], 2
	s_mov_b32 s45, s1
	v_mul_f32_e32 v6, 0x4b800000, v3
	v_cmp_gt_f32_e32 vcc_lo, 0x800000, v3
	s_sub_co_i32 s44, s60, s9
	s_ashr_i32 s19, s18, 31
	s_mul_u64 s[24:25], s[42:43], s[46:47]
	s_lshl_b64 s[2:3], s[2:3], 2
	v_cndmask_b32_e32 v3, v3, v6, vcc_lo
	v_mul_u64_e32 v[6:7], s[0:1], v[0:1]
	s_add_nc_u64 s[20:21], s[20:21], s[26:27]
	s_mul_u64 s[22:23], s[22:23], s[44:45]
	s_mul_u64 s[18:19], s[40:41], s[18:19]
	v_rsq_f32_e32 v3, v3
	s_add_nc_u64 s[2:3], s[20:21], s[2:3]
	s_lshl_b64 s[20:21], s[24:25], 2
	s_lshl_b64 s[22:23], s[22:23], 2
	s_add_nc_u64 s[20:21], s[36:37], s[20:21]
	s_lshl_b64 s[18:19], s[18:19], 2
	s_add_nc_u64 s[2:3], s[2:3], s[22:23]
	v_nop
	v_mul_f32_e32 v8, 0x45800000, v3
	s_add_nc_u64 s[18:19], s[20:21], s[18:19]
	s_lshl_b64 s[20:21], s[52:53], 2
	s_lshl_b64 s[22:23], s[54:55], 2
	s_ashr_i32 s9, s8, 31
	s_add_nc_u64 s[20:21], s[20:21], s[22:23]
	s_lshl_b64 s[22:23], s[34:35], 2
	v_dual_cndmask_b32 v10, v3, v8 :: v_dual_mov_b32 v3, v1
	s_lshl_b64 s[8:9], s[8:9], 2
	s_add_nc_u64 s[20:21], s[20:21], s[22:23]
	s_sub_co_i32 s16, s60, s15
	s_add_nc_u64 s[8:9], s[30:31], s[8:9]
	s_add_nc_u64 s[20:21], s[28:29], s[20:21]
	s_ashr_i32 s17, s16, 31
	v_add_nc_u64_e32 v[8:9], s[8:9], v[2:3]
	v_add_nc_u64_e32 v[2:3], s[20:21], v[2:3]
	s_mul_u64 s[16:17], s[38:39], s[16:17]
	s_lshl_b64 s[10:11], s[10:11], 10
	s_lshl_b64 s[16:17], s[16:17], 2
	s_sub_co_i32 s4, 0, s14
	s_add_nc_u64 s[8:9], s[18:19], s[16:17]
	s_lshl_b64 s[16:17], s[0:1], 10
	s_sub_co_i32 s0, 0, s6
.LBB9_8:                                ; =>This Inner Loop Header: Depth=1
	v_dual_add_nc_u32 v1, v0, v7 :: v_dual_add_nc_u32 v11, v0, v5
	v_add_nc_u64_e32 v[4:5], s[10:11], v[4:5]
	v_add_nc_u64_e32 v[6:7], s[16:17], v[6:7]
	s_delay_alu instid0(VALU_DEP_3) | instskip(NEXT) | instid1(VALU_DEP_1)
	v_dual_lshrrev_b32 v1, s5, v1 :: v_dual_lshrrev_b32 v11, s13, v11
	v_mad_u32 v1, s0, v1, v0
	s_delay_alu instid0(VALU_DEP_2)
	v_mad_u32 v11, s4, v11, v0
	v_add_nc_u32_e32 v0, 0x400, v0
	global_load_b32 v12, v[2:3], off
	global_load_b32 v13, v1, s[2:3] scale_offset
	global_load_b32 v14, v11, s[8:9] scale_offset
	s_wait_xcnt 0x2
	v_add_nc_u64_e32 v[2:3], 0x1000, v[2:3]
	v_cmp_le_i32_e32 vcc_lo, s33, v0
	s_or_b32 s1, vcc_lo, s1
	s_wait_loadcnt 0x2
	s_wait_xcnt 0x1
	v_mul_f32_e32 v1, v10, v12
	s_wait_loadcnt 0x0
	s_delay_alu instid0(VALU_DEP_1)
	v_fmac_f32_e32 v14, v1, v13
	global_store_b32 v[8:9], v14, off
	s_wait_xcnt 0x0
	v_add_nc_u64_e32 v[8:9], 0x1000, v[8:9]
	s_and_not1_b32 exec_lo, exec_lo, s1
	s_cbranch_execnz .LBB9_8
.LBB9_9:
	s_endpgm
	.section	.rodata,"a",@progbits
	.p2align	6, 0x0
	.amdhsa_kernel _ZL12rms_norm_f32ILi1024ELb1ELb1EEvPKfPfilllfS1_lll15HIP_vector_typeIjLj3EES4_S4_S4_S1_lllS4_S4_S4_S4_
		.amdhsa_group_segment_fixed_size 0
		.amdhsa_private_segment_fixed_size 0
		.amdhsa_kernarg_size 472
		.amdhsa_user_sgpr_count 2
		.amdhsa_user_sgpr_dispatch_ptr 0
		.amdhsa_user_sgpr_queue_ptr 0
		.amdhsa_user_sgpr_kernarg_segment_ptr 1
		.amdhsa_user_sgpr_dispatch_id 0
		.amdhsa_user_sgpr_kernarg_preload_length 0
		.amdhsa_user_sgpr_kernarg_preload_offset 0
		.amdhsa_user_sgpr_private_segment_size 0
		.amdhsa_wavefront_size32 1
		.amdhsa_uses_dynamic_stack 0
		.amdhsa_enable_private_segment 0
		.amdhsa_system_sgpr_workgroup_id_x 1
		.amdhsa_system_sgpr_workgroup_id_y 1
		.amdhsa_system_sgpr_workgroup_id_z 1
		.amdhsa_system_sgpr_workgroup_info 0
		.amdhsa_system_vgpr_workitem_id 0
		.amdhsa_next_free_vgpr 15
		.amdhsa_next_free_sgpr 64
		.amdhsa_named_barrier_count 0
		.amdhsa_reserve_vcc 1
		.amdhsa_float_round_mode_32 0
		.amdhsa_float_round_mode_16_64 0
		.amdhsa_float_denorm_mode_32 3
		.amdhsa_float_denorm_mode_16_64 3
		.amdhsa_fp16_overflow 0
		.amdhsa_memory_ordered 1
		.amdhsa_forward_progress 1
		.amdhsa_inst_pref_size 12
		.amdhsa_round_robin_scheduling 0
		.amdhsa_exception_fp_ieee_invalid_op 0
		.amdhsa_exception_fp_denorm_src 0
		.amdhsa_exception_fp_ieee_div_zero 0
		.amdhsa_exception_fp_ieee_overflow 0
		.amdhsa_exception_fp_ieee_underflow 0
		.amdhsa_exception_fp_ieee_inexact 0
		.amdhsa_exception_int_div_zero 0
	.end_amdhsa_kernel
	.section	.text._ZL12rms_norm_f32ILi1024ELb1ELb1EEvPKfPfilllfS1_lll15HIP_vector_typeIjLj3EES4_S4_S4_S1_lllS4_S4_S4_S4_,"axG",@progbits,_ZL12rms_norm_f32ILi1024ELb1ELb1EEvPKfPfilllfS1_lll15HIP_vector_typeIjLj3EES4_S4_S4_S1_lllS4_S4_S4_S4_,comdat
.Lfunc_end9:
	.size	_ZL12rms_norm_f32ILi1024ELb1ELb1EEvPKfPfilllfS1_lll15HIP_vector_typeIjLj3EES4_S4_S4_S1_lllS4_S4_S4_S4_, .Lfunc_end9-_ZL12rms_norm_f32ILi1024ELb1ELb1EEvPKfPfilllfS1_lll15HIP_vector_typeIjLj3EES4_S4_S4_S1_lllS4_S4_S4_S4_
                                        ; -- End function
	.set _ZL12rms_norm_f32ILi1024ELb1ELb1EEvPKfPfilllfS1_lll15HIP_vector_typeIjLj3EES4_S4_S4_S1_lllS4_S4_S4_S4_.num_vgpr, 15
	.set _ZL12rms_norm_f32ILi1024ELb1ELb1EEvPKfPfilllfS1_lll15HIP_vector_typeIjLj3EES4_S4_S4_S1_lllS4_S4_S4_S4_.num_agpr, 0
	.set _ZL12rms_norm_f32ILi1024ELb1ELb1EEvPKfPfilllfS1_lll15HIP_vector_typeIjLj3EES4_S4_S4_S1_lllS4_S4_S4_S4_.numbered_sgpr, 64
	.set _ZL12rms_norm_f32ILi1024ELb1ELb1EEvPKfPfilllfS1_lll15HIP_vector_typeIjLj3EES4_S4_S4_S1_lllS4_S4_S4_S4_.num_named_barrier, 0
	.set _ZL12rms_norm_f32ILi1024ELb1ELb1EEvPKfPfilllfS1_lll15HIP_vector_typeIjLj3EES4_S4_S4_S1_lllS4_S4_S4_S4_.private_seg_size, 0
	.set _ZL12rms_norm_f32ILi1024ELb1ELb1EEvPKfPfilllfS1_lll15HIP_vector_typeIjLj3EES4_S4_S4_S1_lllS4_S4_S4_S4_.uses_vcc, 1
	.set _ZL12rms_norm_f32ILi1024ELb1ELb1EEvPKfPfilllfS1_lll15HIP_vector_typeIjLj3EES4_S4_S4_S1_lllS4_S4_S4_S4_.uses_flat_scratch, 0
	.set _ZL12rms_norm_f32ILi1024ELb1ELb1EEvPKfPfilllfS1_lll15HIP_vector_typeIjLj3EES4_S4_S4_S1_lllS4_S4_S4_S4_.has_dyn_sized_stack, 0
	.set _ZL12rms_norm_f32ILi1024ELb1ELb1EEvPKfPfilllfS1_lll15HIP_vector_typeIjLj3EES4_S4_S4_S1_lllS4_S4_S4_S4_.has_recursion, 0
	.set _ZL12rms_norm_f32ILi1024ELb1ELb1EEvPKfPfilllfS1_lll15HIP_vector_typeIjLj3EES4_S4_S4_S1_lllS4_S4_S4_S4_.has_indirect_call, 0
	.section	.AMDGPU.csdata,"",@progbits
; Kernel info:
; codeLenInByte = 1436
; TotalNumSgprs: 66
; NumVgprs: 15
; ScratchSize: 0
; MemoryBound: 0
; FloatMode: 240
; IeeeMode: 1
; LDSByteSize: 0 bytes/workgroup (compile time only)
; SGPRBlocks: 0
; VGPRBlocks: 0
; NumSGPRsForWavesPerEU: 66
; NumVGPRsForWavesPerEU: 15
; NamedBarCnt: 0
; Occupancy: 16
; WaveLimiterHint : 1
; COMPUTE_PGM_RSRC2:SCRATCH_EN: 0
; COMPUTE_PGM_RSRC2:USER_SGPR: 2
; COMPUTE_PGM_RSRC2:TRAP_HANDLER: 0
; COMPUTE_PGM_RSRC2:TGID_X_EN: 1
; COMPUTE_PGM_RSRC2:TGID_Y_EN: 1
; COMPUTE_PGM_RSRC2:TGID_Z_EN: 1
; COMPUTE_PGM_RSRC2:TIDIG_COMP_CNT: 0
	.section	.text._ZL17rms_norm_back_f32ILi32EEvPKfS1_Pfif,"axG",@progbits,_ZL17rms_norm_back_f32ILi32EEvPKfS1_Pfif,comdat
	.globl	_ZL17rms_norm_back_f32ILi32EEvPKfS1_Pfif ; -- Begin function _ZL17rms_norm_back_f32ILi32EEvPKfS1_Pfif
	.p2align	8
	.type	_ZL17rms_norm_back_f32ILi32EEvPKfS1_Pfif,@function
_ZL17rms_norm_back_f32ILi32EEvPKfS1_Pfif: ; @_ZL17rms_norm_back_f32ILi32EEvPKfS1_Pfif
; %bb.0:
	s_load_u16 s2, s[0:1], 0x2e
	s_bfe_u32 s3, ttmp6, 0x4000c
	s_and_b32 s12, ttmp6, 15
	s_add_co_i32 s3, s3, 1
	s_load_b256 s[4:11], s[0:1], 0x0
	s_mul_i32 s3, ttmp9, s3
	s_wait_xcnt 0x0
	s_getreg_b32 s0, hwreg(HW_REG_IB_STS2, 6, 4)
	s_add_co_i32 s12, s12, s3
	v_bfe_u32 v1, v0, 10, 10
	s_cmp_eq_u32 s0, 0
	v_and_b32_e32 v10, 0x3ff, v0
	s_cselect_b32 s0, ttmp9, s12
	s_delay_alu instid0(VALU_DEP_1) | instskip(NEXT) | instid1(VALU_DEP_1)
	v_dual_mov_b32 v5, 0 :: v_dual_lshlrev_b32 v0, 2, v10
	v_mov_b32_e32 v4, v5
	s_wait_kmcnt 0x0
	v_mad_u32 v2, s0, s2, v1
	s_ashr_i32 s3, s10, 31
	s_mov_b32 s2, s10
	v_cmp_gt_i32_e32 vcc_lo, s10, v10
	s_delay_alu instid0(VALU_DEP_2) | instskip(NEXT) | instid1(VALU_DEP_1)
	v_ashrrev_i32_e32 v3, 31, v2
	v_mul_u64_e32 v[2:3], s[2:3], v[2:3]
	s_mov_b32 s3, 0
	s_and_saveexec_b32 s1, vcc_lo
	s_cbranch_execz .LBB10_4
; %bb.1:
	v_dual_mov_b32 v1, 0 :: v_dual_mov_b32 v11, v10
	s_delay_alu instid0(VALU_DEP_1) | instskip(NEXT) | instid1(VALU_DEP_1)
	v_lshl_add_u64 v[4:5], v[2:3], 2, v[0:1]
	v_add_nc_u64_e32 v[6:7], s[6:7], v[4:5]
	v_add_nc_u64_e32 v[8:9], s[4:5], v[4:5]
	v_dual_mov_b32 v4, v1 :: v_dual_mov_b32 v5, v1
.LBB10_2:                               ; =>This Inner Loop Header: Depth=1
	global_load_b32 v12, v[6:7], off
	global_load_b32 v14, v[8:9], off
	v_add_nc_u32_e32 v11, 32, v11
	s_wait_xcnt 0x1
	v_add_nc_u64_e32 v[6:7], 0x80, v[6:7]
	s_wait_xcnt 0x0
	v_add_nc_u64_e32 v[8:9], 0x80, v[8:9]
	s_wait_loadcnt 0x1
	v_mov_b32_e32 v15, v12
	v_cmp_le_i32_e64 s0, s2, v11
	s_wait_loadcnt 0x0
	s_delay_alu instid0(VALU_DEP_2) | instskip(SKIP_1) | instid1(SALU_CYCLE_1)
	v_pk_fma_f32 v[4:5], v[12:13], v[14:15], v[4:5] op_sel_hi:[0,1,1]
	s_or_b32 s3, s0, s3
	s_and_not1_b32 exec_lo, exec_lo, s3
	s_cbranch_execnz .LBB10_2
; %bb.3:
	s_or_b32 exec_lo, exec_lo, s3
.LBB10_4:
	s_delay_alu instid0(SALU_CYCLE_1) | instskip(SKIP_1) | instid1(VALU_DEP_1)
	s_or_b32 exec_lo, exec_lo, s1
	v_mbcnt_lo_u32_b32 v1, -1, 0
	v_xor_b32_e32 v8, 8, v1
	v_xor_b32_e32 v6, 16, v1
	s_delay_alu instid0(VALU_DEP_1) | instskip(NEXT) | instid1(VALU_DEP_1)
	v_cmp_gt_i32_e64 s0, 32, v6
	v_cndmask_b32_e64 v6, v1, v6, s0
	s_delay_alu instid0(VALU_DEP_4) | instskip(NEXT) | instid1(VALU_DEP_1)
	v_cmp_gt_i32_e64 s0, 32, v8
	v_cndmask_b32_e64 v8, v1, v8, s0
	s_delay_alu instid0(VALU_DEP_1)
	v_dual_lshlrev_b32 v8, 2, v8 :: v_dual_lshlrev_b32 v6, 2, v6
	ds_bpermute_b32 v7, v6, v5
	s_wait_dscnt 0x0
	v_add_f32_e32 v5, v5, v7
	ds_bpermute_b32 v6, v6, v4
	s_wait_dscnt 0x0
	v_add_f32_e32 v4, v4, v6
	ds_bpermute_b32 v6, v8, v5
	ds_bpermute_b32 v7, v8, v4
	s_wait_dscnt 0x1
	v_dual_add_f32 v5, v5, v6 :: v_dual_bitop2_b32 v8, 4, v1 bitop3:0x14
	s_delay_alu instid0(VALU_DEP_1) | instskip(SKIP_1) | instid1(VALU_DEP_1)
	v_cmp_gt_i32_e64 s0, 32, v8
	s_wait_dscnt 0x0
	v_dual_add_f32 v4, v4, v7 :: v_dual_cndmask_b32 v8, v1, v8, s0
	s_delay_alu instid0(VALU_DEP_1)
	v_lshlrev_b32_e32 v8, 2, v8
	ds_bpermute_b32 v6, v8, v5
	s_wait_dscnt 0x0
	v_add_f32_e32 v5, v5, v6
	ds_bpermute_b32 v7, v8, v4
	s_wait_dscnt 0x0
	v_dual_add_f32 v4, v4, v7 :: v_dual_bitop2_b32 v8, 2, v1 bitop3:0x14
	s_delay_alu instid0(VALU_DEP_1) | instskip(NEXT) | instid1(VALU_DEP_1)
	v_cmp_gt_i32_e64 s0, 32, v8
	v_cndmask_b32_e64 v8, v1, v8, s0
	s_delay_alu instid0(VALU_DEP_1)
	v_lshlrev_b32_e32 v8, 2, v8
	ds_bpermute_b32 v6, v8, v5
	s_wait_dscnt 0x0
	v_add_f32_e32 v5, v5, v6
	ds_bpermute_b32 v7, v8, v4
	v_xor_b32_e32 v8, 1, v1
	s_delay_alu instid0(VALU_DEP_1) | instskip(NEXT) | instid1(VALU_DEP_1)
	v_cmp_gt_i32_e64 s0, 32, v8
	v_cndmask_b32_e64 v1, v1, v8, s0
	s_mov_b32 s0, 0
	s_wait_dscnt 0x0
	s_delay_alu instid0(VALU_DEP_1)
	v_dual_add_f32 v1, v4, v7 :: v_dual_lshlrev_b32 v8, 2, v1
	ds_bpermute_b32 v6, v8, v5
	ds_bpermute_b32 v4, v8, v1
	s_and_saveexec_b32 s1, vcc_lo
	s_cbranch_execz .LBB10_7
; %bb.5:
	s_wait_dscnt 0x1
	v_add_f32_e32 v5, v5, v6
	s_cvt_f32_i32 s1, s2
	s_wait_dscnt 0x0
	v_add_f32_e32 v1, v1, v4
	s_delay_alu instid0(VALU_DEP_2) | instid1(SALU_CYCLE_1)
	v_div_scale_f32 v6, null, s1, s1, v5
	s_delay_alu instid0(VALU_DEP_1) | instskip(SKIP_1) | instid1(TRANS32_DEP_1)
	v_rcp_f32_e32 v7, v6
	v_nop
	v_fma_f32 v8, -v6, v7, 1.0
	s_delay_alu instid0(VALU_DEP_1) | instskip(SKIP_1) | instid1(VALU_DEP_1)
	v_fmac_f32_e32 v7, v8, v7
	v_div_scale_f32 v9, vcc_lo, v5, s1, v5
	v_mul_f32_e32 v8, v9, v7
	s_delay_alu instid0(VALU_DEP_1) | instskip(NEXT) | instid1(VALU_DEP_1)
	v_fma_f32 v11, -v6, v8, v9
	v_fmac_f32_e32 v8, v11, v7
	s_delay_alu instid0(VALU_DEP_1) | instskip(NEXT) | instid1(VALU_DEP_1)
	v_fma_f32 v6, -v6, v8, v9
	v_div_fmas_f32 v6, v6, v7, v8
	s_delay_alu instid0(VALU_DEP_1) | instskip(SKIP_1) | instid1(VALU_DEP_2)
	v_div_fixup_f32 v6, v6, s1, v5
	v_fmac_f32_e64 v5, s11, s1
	v_add_f32_e32 v6, s11, v6
	s_delay_alu instid0(VALU_DEP_1) | instskip(SKIP_1) | instid1(VALU_DEP_2)
	v_mul_f32_e32 v7, 0x4b800000, v6
	v_cmp_gt_f32_e32 vcc_lo, 0x800000, v6
	v_cndmask_b32_e32 v6, v6, v7, vcc_lo
	s_delay_alu instid0(VALU_DEP_1) | instskip(SKIP_1) | instid1(TRANS32_DEP_1)
	v_rsq_f32_e32 v6, v6
	v_nop
	v_mul_f32_e32 v7, 0x45800000, v6
	s_delay_alu instid0(VALU_DEP_1) | instskip(NEXT) | instid1(VALU_DEP_1)
	v_cndmask_b32_e32 v4, v6, v7, vcc_lo
	v_mul_f32_e64 v8, v1, -v4
	s_delay_alu instid0(VALU_DEP_1) | instskip(SKIP_1) | instid1(VALU_DEP_2)
	v_div_scale_f32 v6, null, v5, v5, v8
	v_div_scale_f32 v7, vcc_lo, v8, v5, v8
	v_rcp_f32_e32 v9, v6
	v_nop
	s_delay_alu instid0(TRANS32_DEP_1) | instskip(NEXT) | instid1(VALU_DEP_1)
	v_fma_f32 v1, -v6, v9, 1.0
	v_fmac_f32_e32 v9, v1, v9
	s_delay_alu instid0(VALU_DEP_1) | instskip(NEXT) | instid1(VALU_DEP_1)
	v_mul_f32_e32 v11, v7, v9
	v_fma_f32 v1, -v6, v11, v7
	s_delay_alu instid0(VALU_DEP_1) | instskip(NEXT) | instid1(VALU_DEP_1)
	v_dual_fmac_f32 v11, v1, v9 :: v_dual_mov_b32 v1, 0
	v_fma_f32 v12, -v6, v11, v7
	s_delay_alu instid0(VALU_DEP_2) | instskip(NEXT) | instid1(VALU_DEP_2)
	v_lshl_add_u64 v[6:7], v[2:3], 2, v[0:1]
	v_div_fmas_f32 v9, v12, v9, v11
	s_delay_alu instid0(VALU_DEP_2) | instskip(SKIP_2) | instid1(VALU_DEP_4)
	v_add_nc_u64_e32 v[0:1], s[4:5], v[6:7]
	v_add_nc_u64_e32 v[2:3], s[6:7], v[6:7]
	v_add_nc_u64_e32 v[6:7], s[8:9], v[6:7]
	v_div_fixup_f32 v5, v9, v5, v8
.LBB10_6:                               ; =>This Inner Loop Header: Depth=1
	global_load_b32 v8, v[0:1], off
	global_load_b32 v9, v[2:3], off
	s_wait_xcnt 0x1
	v_add_nc_u64_e32 v[0:1], 0x80, v[0:1]
	s_wait_xcnt 0x0
	v_add_nc_u64_e32 v[2:3], 0x80, v[2:3]
	s_wait_loadcnt 0x0
	v_pk_mul_f32 v[8:9], v[4:5], v[8:9]
	s_delay_alu instid0(VALU_DEP_1) | instskip(NEXT) | instid1(VALU_DEP_1)
	v_dual_add_nc_u32 v10, 32, v10 :: v_dual_add_f32 v8, v8, v9
	v_cmp_le_i32_e32 vcc_lo, s2, v10
	global_store_b32 v[6:7], v8, off
	s_wait_xcnt 0x0
	v_add_nc_u64_e32 v[6:7], 0x80, v[6:7]
	s_or_b32 s0, vcc_lo, s0
	s_delay_alu instid0(SALU_CYCLE_1)
	s_and_not1_b32 exec_lo, exec_lo, s0
	s_cbranch_execnz .LBB10_6
.LBB10_7:
	s_endpgm
	.section	.rodata,"a",@progbits
	.p2align	6, 0x0
	.amdhsa_kernel _ZL17rms_norm_back_f32ILi32EEvPKfS1_Pfif
		.amdhsa_group_segment_fixed_size 0
		.amdhsa_private_segment_fixed_size 0
		.amdhsa_kernarg_size 288
		.amdhsa_user_sgpr_count 2
		.amdhsa_user_sgpr_dispatch_ptr 0
		.amdhsa_user_sgpr_queue_ptr 0
		.amdhsa_user_sgpr_kernarg_segment_ptr 1
		.amdhsa_user_sgpr_dispatch_id 0
		.amdhsa_user_sgpr_kernarg_preload_length 0
		.amdhsa_user_sgpr_kernarg_preload_offset 0
		.amdhsa_user_sgpr_private_segment_size 0
		.amdhsa_wavefront_size32 1
		.amdhsa_uses_dynamic_stack 0
		.amdhsa_enable_private_segment 0
		.amdhsa_system_sgpr_workgroup_id_x 1
		.amdhsa_system_sgpr_workgroup_id_y 0
		.amdhsa_system_sgpr_workgroup_id_z 0
		.amdhsa_system_sgpr_workgroup_info 0
		.amdhsa_system_vgpr_workitem_id 1
		.amdhsa_next_free_vgpr 16
		.amdhsa_next_free_sgpr 13
		.amdhsa_named_barrier_count 0
		.amdhsa_reserve_vcc 1
		.amdhsa_float_round_mode_32 0
		.amdhsa_float_round_mode_16_64 0
		.amdhsa_float_denorm_mode_32 3
		.amdhsa_float_denorm_mode_16_64 3
		.amdhsa_fp16_overflow 0
		.amdhsa_memory_ordered 1
		.amdhsa_forward_progress 1
		.amdhsa_inst_pref_size 9
		.amdhsa_round_robin_scheduling 0
		.amdhsa_exception_fp_ieee_invalid_op 0
		.amdhsa_exception_fp_denorm_src 0
		.amdhsa_exception_fp_ieee_div_zero 0
		.amdhsa_exception_fp_ieee_overflow 0
		.amdhsa_exception_fp_ieee_underflow 0
		.amdhsa_exception_fp_ieee_inexact 0
		.amdhsa_exception_int_div_zero 0
	.end_amdhsa_kernel
	.section	.text._ZL17rms_norm_back_f32ILi32EEvPKfS1_Pfif,"axG",@progbits,_ZL17rms_norm_back_f32ILi32EEvPKfS1_Pfif,comdat
.Lfunc_end10:
	.size	_ZL17rms_norm_back_f32ILi32EEvPKfS1_Pfif, .Lfunc_end10-_ZL17rms_norm_back_f32ILi32EEvPKfS1_Pfif
                                        ; -- End function
	.set _ZL17rms_norm_back_f32ILi32EEvPKfS1_Pfif.num_vgpr, 16
	.set _ZL17rms_norm_back_f32ILi32EEvPKfS1_Pfif.num_agpr, 0
	.set _ZL17rms_norm_back_f32ILi32EEvPKfS1_Pfif.numbered_sgpr, 13
	.set _ZL17rms_norm_back_f32ILi32EEvPKfS1_Pfif.num_named_barrier, 0
	.set _ZL17rms_norm_back_f32ILi32EEvPKfS1_Pfif.private_seg_size, 0
	.set _ZL17rms_norm_back_f32ILi32EEvPKfS1_Pfif.uses_vcc, 1
	.set _ZL17rms_norm_back_f32ILi32EEvPKfS1_Pfif.uses_flat_scratch, 0
	.set _ZL17rms_norm_back_f32ILi32EEvPKfS1_Pfif.has_dyn_sized_stack, 0
	.set _ZL17rms_norm_back_f32ILi32EEvPKfS1_Pfif.has_recursion, 0
	.set _ZL17rms_norm_back_f32ILi32EEvPKfS1_Pfif.has_indirect_call, 0
	.section	.AMDGPU.csdata,"",@progbits
; Kernel info:
; codeLenInByte = 1060
; TotalNumSgprs: 15
; NumVgprs: 16
; ScratchSize: 0
; MemoryBound: 0
; FloatMode: 240
; IeeeMode: 1
; LDSByteSize: 0 bytes/workgroup (compile time only)
; SGPRBlocks: 0
; VGPRBlocks: 0
; NumSGPRsForWavesPerEU: 15
; NumVGPRsForWavesPerEU: 16
; NamedBarCnt: 0
; Occupancy: 16
; WaveLimiterHint : 0
; COMPUTE_PGM_RSRC2:SCRATCH_EN: 0
; COMPUTE_PGM_RSRC2:USER_SGPR: 2
; COMPUTE_PGM_RSRC2:TRAP_HANDLER: 0
; COMPUTE_PGM_RSRC2:TGID_X_EN: 1
; COMPUTE_PGM_RSRC2:TGID_Y_EN: 0
; COMPUTE_PGM_RSRC2:TGID_Z_EN: 0
; COMPUTE_PGM_RSRC2:TIDIG_COMP_CNT: 1
	.section	.text._ZL17rms_norm_back_f32ILi1024EEvPKfS1_Pfif,"axG",@progbits,_ZL17rms_norm_back_f32ILi1024EEvPKfS1_Pfif,comdat
	.globl	_ZL17rms_norm_back_f32ILi1024EEvPKfS1_Pfif ; -- Begin function _ZL17rms_norm_back_f32ILi1024EEvPKfS1_Pfif
	.p2align	8
	.type	_ZL17rms_norm_back_f32ILi1024EEvPKfS1_Pfif,@function
_ZL17rms_norm_back_f32ILi1024EEvPKfS1_Pfif: ; @_ZL17rms_norm_back_f32ILi1024EEvPKfS1_Pfif
; %bb.0:
	s_load_u16 s2, s[0:1], 0x2e
	s_bfe_u32 s3, ttmp6, 0x4000c
	s_and_b32 s12, ttmp6, 15
	s_add_co_i32 s3, s3, 1
	s_load_b256 s[4:11], s[0:1], 0x0
	s_mul_i32 s3, ttmp9, s3
	s_wait_xcnt 0x0
	s_getreg_b32 s0, hwreg(HW_REG_IB_STS2, 6, 4)
	s_add_co_i32 s12, s12, s3
	v_bfe_u32 v1, v0, 10, 10
	s_cmp_eq_u32 s0, 0
	v_and_b32_e32 v10, 0x3ff, v0
	s_cselect_b32 s0, ttmp9, s12
	s_delay_alu instid0(VALU_DEP_1) | instskip(NEXT) | instid1(VALU_DEP_1)
	v_dual_mov_b32 v5, 0 :: v_dual_lshlrev_b32 v0, 2, v10
	v_mov_b32_e32 v4, v5
	s_wait_kmcnt 0x0
	v_mad_u32 v2, s0, s2, v1
	s_ashr_i32 s3, s10, 31
	s_mov_b32 s2, s10
	v_cmp_gt_i32_e32 vcc_lo, s10, v10
	s_delay_alu instid0(VALU_DEP_2) | instskip(NEXT) | instid1(VALU_DEP_1)
	v_ashrrev_i32_e32 v3, 31, v2
	v_mul_u64_e32 v[2:3], s[2:3], v[2:3]
	s_mov_b32 s3, 0
	s_and_saveexec_b32 s1, vcc_lo
	s_cbranch_execz .LBB11_4
; %bb.1:
	v_dual_mov_b32 v1, 0 :: v_dual_mov_b32 v11, v10
	s_delay_alu instid0(VALU_DEP_1) | instskip(NEXT) | instid1(VALU_DEP_1)
	v_lshl_add_u64 v[4:5], v[2:3], 2, v[0:1]
	v_add_nc_u64_e32 v[6:7], s[6:7], v[4:5]
	v_add_nc_u64_e32 v[8:9], s[4:5], v[4:5]
	v_dual_mov_b32 v4, v1 :: v_dual_mov_b32 v5, v1
.LBB11_2:                               ; =>This Inner Loop Header: Depth=1
	global_load_b32 v12, v[6:7], off
	global_load_b32 v14, v[8:9], off
	v_add_nc_u32_e32 v11, 0x400, v11
	s_wait_xcnt 0x1
	v_add_nc_u64_e32 v[6:7], 0x1000, v[6:7]
	s_wait_xcnt 0x0
	v_add_nc_u64_e32 v[8:9], 0x1000, v[8:9]
	v_cmp_le_i32_e64 s0, s2, v11
	s_or_b32 s3, s0, s3
	s_wait_loadcnt 0x1
	v_mov_b32_e32 v15, v12
	s_wait_loadcnt 0x0
	s_delay_alu instid0(VALU_DEP_1)
	v_pk_fma_f32 v[4:5], v[12:13], v[14:15], v[4:5] op_sel_hi:[0,1,1]
	s_and_not1_b32 exec_lo, exec_lo, s3
	s_cbranch_execnz .LBB11_2
; %bb.3:
	s_or_b32 exec_lo, exec_lo, s3
.LBB11_4:
	s_delay_alu instid0(SALU_CYCLE_1) | instskip(SKIP_2) | instid1(VALU_DEP_1)
	s_or_b32 exec_lo, exec_lo, s1
	v_mbcnt_lo_u32_b32 v7, -1, 0
	s_mov_b32 s1, exec_lo
	v_xor_b32_e32 v6, 8, v7
	v_xor_b32_e32 v1, 16, v7
	;; [unrolled: 1-line block ×3, first 2 shown]
	s_delay_alu instid0(VALU_DEP_2) | instskip(NEXT) | instid1(VALU_DEP_1)
	v_cmp_gt_i32_e64 s0, 32, v1
	v_cndmask_b32_e64 v1, v7, v1, s0
	v_cmp_gt_i32_e64 s0, 32, v6
	s_delay_alu instid0(VALU_DEP_1) | instskip(NEXT) | instid1(VALU_DEP_1)
	v_cndmask_b32_e64 v6, v7, v6, s0
	v_dual_lshlrev_b32 v6, 2, v6 :: v_dual_lshlrev_b32 v1, 2, v1
	ds_bpermute_b32 v8, v1, v5
	s_wait_dscnt 0x0
	v_add_f32_e32 v5, v5, v8
	ds_bpermute_b32 v9, v1, v4
	s_wait_dscnt 0x0
	v_add_f32_e32 v8, v4, v9
	ds_bpermute_b32 v9, v6, v5
	v_xor_b32_e32 v4, 4, v7
	ds_bpermute_b32 v11, v6, v8
	s_wait_dscnt 0x1
	v_add_f32_e32 v9, v5, v9
	v_cmp_gt_i32_e64 s0, 32, v4
	v_xor_b32_e32 v5, 2, v7
	s_wait_dscnt 0x0
	s_delay_alu instid0(VALU_DEP_2) | instskip(NEXT) | instid1(VALU_DEP_2)
	v_dual_add_f32 v8, v8, v11 :: v_dual_cndmask_b32 v4, v7, v4, s0
	v_cmp_gt_i32_e64 s0, 32, v5
	s_delay_alu instid0(VALU_DEP_2)
	v_lshlrev_b32_e32 v4, 2, v4
	ds_bpermute_b32 v11, v4, v9
	ds_bpermute_b32 v12, v4, v8
	v_cndmask_b32_e64 v5, v7, v5, s0
	v_cmp_gt_i32_e64 s0, 32, v13
	s_wait_dscnt 0x1
	s_delay_alu instid0(VALU_DEP_2)
	v_dual_add_f32 v9, v9, v11 :: v_dual_lshlrev_b32 v5, 2, v5
	s_wait_dscnt 0x0
	v_add_f32_e32 v8, v8, v12
	ds_bpermute_b32 v11, v5, v9
	ds_bpermute_b32 v12, v5, v8
	s_wait_dscnt 0x1
	v_dual_cndmask_b32 v7, v7, v13, s0 :: v_dual_add_f32 v9, v9, v11
	s_wait_dscnt 0x0
	s_delay_alu instid0(VALU_DEP_1)
	v_dual_add_f32 v12, v8, v12 :: v_dual_lshlrev_b32 v7, 2, v7
	v_and_b32_e32 v8, 31, v10
	ds_bpermute_b32 v11, v7, v9
	ds_bpermute_b32 v13, v7, v12
	v_cmpx_eq_u32_e32 0, v8
	s_cbranch_execz .LBB11_6
; %bb.5:
	s_wait_dscnt 0x0
	v_dual_lshrrev_b32 v14, 3, v10 :: v_dual_add_f32 v12, v12, v13
	v_add_f32_e32 v9, v9, v11
	ds_store_2addr_b32 v14, v12, v9 offset1:32
.LBB11_6:
	s_or_b32 exec_lo, exec_lo, s1
	v_lshlrev_b32_e32 v8, 2, v8
	s_wait_dscnt 0x0
	s_barrier_signal -1
	s_barrier_wait -1
	ds_load_2addr_b32 v[8:9], v8 offset1:32
	s_wait_dscnt 0x0
	ds_bpermute_b32 v11, v1, v9
	ds_bpermute_b32 v1, v1, v8
	s_wait_dscnt 0x0
	v_dual_add_f32 v9, v9, v11 :: v_dual_add_f32 v1, v8, v1
	ds_bpermute_b32 v8, v6, v9
	s_wait_dscnt 0x0
	v_add_f32_e32 v8, v9, v8
	ds_bpermute_b32 v6, v6, v1
	s_wait_dscnt 0x0
	v_add_f32_e32 v1, v1, v6
	;; [unrolled: 3-line block ×4, first 2 shown]
	ds_bpermute_b32 v4, v5, v6
	ds_bpermute_b32 v8, v5, v1
	s_wait_dscnt 0x1
	v_add_f32_e32 v5, v6, v4
	s_wait_dscnt 0x0
	v_add_f32_e32 v1, v1, v8
	ds_bpermute_b32 v6, v7, v5
	ds_bpermute_b32 v4, v7, v1
	s_and_saveexec_b32 s0, vcc_lo
	s_cbranch_execz .LBB11_9
; %bb.7:
	s_wait_dscnt 0x1
	v_add_f32_e32 v5, v5, v6
	s_cvt_f32_i32 s0, s2
	s_wait_dscnt 0x0
	v_add_f32_e32 v1, v1, v4
	s_delay_alu instid0(VALU_DEP_2) | instid1(SALU_CYCLE_1)
	v_div_scale_f32 v6, null, s0, s0, v5
	s_delay_alu instid0(VALU_DEP_1) | instskip(SKIP_1) | instid1(TRANS32_DEP_1)
	v_rcp_f32_e32 v7, v6
	v_nop
	v_fma_f32 v8, -v6, v7, 1.0
	s_delay_alu instid0(VALU_DEP_1) | instskip(SKIP_1) | instid1(VALU_DEP_1)
	v_fmac_f32_e32 v7, v8, v7
	v_div_scale_f32 v9, vcc_lo, v5, s0, v5
	v_mul_f32_e32 v8, v9, v7
	s_delay_alu instid0(VALU_DEP_1) | instskip(NEXT) | instid1(VALU_DEP_1)
	v_fma_f32 v11, -v6, v8, v9
	v_fmac_f32_e32 v8, v11, v7
	s_delay_alu instid0(VALU_DEP_1) | instskip(NEXT) | instid1(VALU_DEP_1)
	v_fma_f32 v6, -v6, v8, v9
	v_div_fmas_f32 v6, v6, v7, v8
	s_delay_alu instid0(VALU_DEP_1) | instskip(SKIP_2) | instid1(VALU_DEP_2)
	v_div_fixup_f32 v6, v6, s0, v5
	v_fmac_f32_e64 v5, s11, s0
	s_mov_b32 s0, 0
	v_add_f32_e32 v6, s11, v6
	s_delay_alu instid0(VALU_DEP_1) | instskip(SKIP_1) | instid1(VALU_DEP_2)
	v_mul_f32_e32 v7, 0x4b800000, v6
	v_cmp_gt_f32_e32 vcc_lo, 0x800000, v6
	v_cndmask_b32_e32 v6, v6, v7, vcc_lo
	s_delay_alu instid0(VALU_DEP_1) | instskip(SKIP_1) | instid1(TRANS32_DEP_1)
	v_rsq_f32_e32 v6, v6
	v_nop
	v_mul_f32_e32 v7, 0x45800000, v6
	s_delay_alu instid0(VALU_DEP_1) | instskip(NEXT) | instid1(VALU_DEP_1)
	v_cndmask_b32_e32 v4, v6, v7, vcc_lo
	v_mul_f32_e64 v8, v1, -v4
	s_delay_alu instid0(VALU_DEP_1) | instskip(SKIP_1) | instid1(VALU_DEP_2)
	v_div_scale_f32 v6, null, v5, v5, v8
	v_div_scale_f32 v7, vcc_lo, v8, v5, v8
	v_rcp_f32_e32 v9, v6
	v_nop
	s_delay_alu instid0(TRANS32_DEP_1) | instskip(NEXT) | instid1(VALU_DEP_1)
	v_fma_f32 v1, -v6, v9, 1.0
	v_fmac_f32_e32 v9, v1, v9
	s_delay_alu instid0(VALU_DEP_1) | instskip(NEXT) | instid1(VALU_DEP_1)
	v_mul_f32_e32 v11, v7, v9
	v_fma_f32 v1, -v6, v11, v7
	s_delay_alu instid0(VALU_DEP_1) | instskip(NEXT) | instid1(VALU_DEP_1)
	v_dual_fmac_f32 v11, v1, v9 :: v_dual_mov_b32 v1, 0
	v_fma_f32 v12, -v6, v11, v7
	s_delay_alu instid0(VALU_DEP_2) | instskip(NEXT) | instid1(VALU_DEP_2)
	v_lshl_add_u64 v[6:7], v[2:3], 2, v[0:1]
	v_div_fmas_f32 v9, v12, v9, v11
	s_delay_alu instid0(VALU_DEP_2) | instskip(SKIP_2) | instid1(VALU_DEP_4)
	v_add_nc_u64_e32 v[0:1], s[4:5], v[6:7]
	v_add_nc_u64_e32 v[2:3], s[6:7], v[6:7]
	v_add_nc_u64_e32 v[6:7], s[8:9], v[6:7]
	v_div_fixup_f32 v5, v9, v5, v8
.LBB11_8:                               ; =>This Inner Loop Header: Depth=1
	global_load_b32 v8, v[0:1], off
	global_load_b32 v9, v[2:3], off
	v_add_nc_u32_e32 v10, 0x400, v10
	s_wait_xcnt 0x1
	v_add_nc_u64_e32 v[0:1], 0x1000, v[0:1]
	s_wait_xcnt 0x0
	v_add_nc_u64_e32 v[2:3], 0x1000, v[2:3]
	v_cmp_le_i32_e32 vcc_lo, s2, v10
	s_or_b32 s0, vcc_lo, s0
	s_wait_loadcnt 0x0
	v_pk_mul_f32 v[8:9], v[4:5], v[8:9]
	s_delay_alu instid0(VALU_DEP_1)
	v_add_f32_e32 v8, v8, v9
	global_store_b32 v[6:7], v8, off
	s_wait_xcnt 0x0
	v_add_nc_u64_e32 v[6:7], 0x1000, v[6:7]
	s_and_not1_b32 exec_lo, exec_lo, s0
	s_cbranch_execnz .LBB11_8
.LBB11_9:
	s_endpgm
	.section	.rodata,"a",@progbits
	.p2align	6, 0x0
	.amdhsa_kernel _ZL17rms_norm_back_f32ILi1024EEvPKfS1_Pfif
		.amdhsa_group_segment_fixed_size 256
		.amdhsa_private_segment_fixed_size 0
		.amdhsa_kernarg_size 288
		.amdhsa_user_sgpr_count 2
		.amdhsa_user_sgpr_dispatch_ptr 0
		.amdhsa_user_sgpr_queue_ptr 0
		.amdhsa_user_sgpr_kernarg_segment_ptr 1
		.amdhsa_user_sgpr_dispatch_id 0
		.amdhsa_user_sgpr_kernarg_preload_length 0
		.amdhsa_user_sgpr_kernarg_preload_offset 0
		.amdhsa_user_sgpr_private_segment_size 0
		.amdhsa_wavefront_size32 1
		.amdhsa_uses_dynamic_stack 0
		.amdhsa_enable_private_segment 0
		.amdhsa_system_sgpr_workgroup_id_x 1
		.amdhsa_system_sgpr_workgroup_id_y 0
		.amdhsa_system_sgpr_workgroup_id_z 0
		.amdhsa_system_sgpr_workgroup_info 0
		.amdhsa_system_vgpr_workitem_id 1
		.amdhsa_next_free_vgpr 16
		.amdhsa_next_free_sgpr 13
		.amdhsa_named_barrier_count 0
		.amdhsa_reserve_vcc 1
		.amdhsa_float_round_mode_32 0
		.amdhsa_float_round_mode_16_64 0
		.amdhsa_float_denorm_mode_32 3
		.amdhsa_float_denorm_mode_16_64 3
		.amdhsa_fp16_overflow 0
		.amdhsa_memory_ordered 1
		.amdhsa_forward_progress 1
		.amdhsa_inst_pref_size 10
		.amdhsa_round_robin_scheduling 0
		.amdhsa_exception_fp_ieee_invalid_op 0
		.amdhsa_exception_fp_denorm_src 0
		.amdhsa_exception_fp_ieee_div_zero 0
		.amdhsa_exception_fp_ieee_overflow 0
		.amdhsa_exception_fp_ieee_underflow 0
		.amdhsa_exception_fp_ieee_inexact 0
		.amdhsa_exception_int_div_zero 0
	.end_amdhsa_kernel
	.section	.text._ZL17rms_norm_back_f32ILi1024EEvPKfS1_Pfif,"axG",@progbits,_ZL17rms_norm_back_f32ILi1024EEvPKfS1_Pfif,comdat
.Lfunc_end11:
	.size	_ZL17rms_norm_back_f32ILi1024EEvPKfS1_Pfif, .Lfunc_end11-_ZL17rms_norm_back_f32ILi1024EEvPKfS1_Pfif
                                        ; -- End function
	.set _ZL17rms_norm_back_f32ILi1024EEvPKfS1_Pfif.num_vgpr, 16
	.set _ZL17rms_norm_back_f32ILi1024EEvPKfS1_Pfif.num_agpr, 0
	.set _ZL17rms_norm_back_f32ILi1024EEvPKfS1_Pfif.numbered_sgpr, 13
	.set _ZL17rms_norm_back_f32ILi1024EEvPKfS1_Pfif.num_named_barrier, 0
	.set _ZL17rms_norm_back_f32ILi1024EEvPKfS1_Pfif.private_seg_size, 0
	.set _ZL17rms_norm_back_f32ILi1024EEvPKfS1_Pfif.uses_vcc, 1
	.set _ZL17rms_norm_back_f32ILi1024EEvPKfS1_Pfif.uses_flat_scratch, 0
	.set _ZL17rms_norm_back_f32ILi1024EEvPKfS1_Pfif.has_dyn_sized_stack, 0
	.set _ZL17rms_norm_back_f32ILi1024EEvPKfS1_Pfif.has_recursion, 0
	.set _ZL17rms_norm_back_f32ILi1024EEvPKfS1_Pfif.has_indirect_call, 0
	.section	.AMDGPU.csdata,"",@progbits
; Kernel info:
; codeLenInByte = 1264
; TotalNumSgprs: 15
; NumVgprs: 16
; ScratchSize: 0
; MemoryBound: 0
; FloatMode: 240
; IeeeMode: 1
; LDSByteSize: 256 bytes/workgroup (compile time only)
; SGPRBlocks: 0
; VGPRBlocks: 0
; NumSGPRsForWavesPerEU: 15
; NumVGPRsForWavesPerEU: 16
; NamedBarCnt: 0
; Occupancy: 16
; WaveLimiterHint : 0
; COMPUTE_PGM_RSRC2:SCRATCH_EN: 0
; COMPUTE_PGM_RSRC2:USER_SGPR: 2
; COMPUTE_PGM_RSRC2:TRAP_HANDLER: 0
; COMPUTE_PGM_RSRC2:TGID_X_EN: 1
; COMPUTE_PGM_RSRC2:TGID_Y_EN: 0
; COMPUTE_PGM_RSRC2:TGID_Z_EN: 0
; COMPUTE_PGM_RSRC2:TIDIG_COMP_CNT: 1
	.section	.text._ZL11l2_norm_f32ILi32EEvPKfPfilllf,"axG",@progbits,_ZL11l2_norm_f32ILi32EEvPKfPfilllf,comdat
	.globl	_ZL11l2_norm_f32ILi32EEvPKfPfilllf ; -- Begin function _ZL11l2_norm_f32ILi32EEvPKfPfilllf
	.p2align	8
	.type	_ZL11l2_norm_f32ILi32EEvPKfPfilllf,@function
_ZL11l2_norm_f32ILi32EEvPKfPfilllf:     ; @_ZL11l2_norm_f32ILi32EEvPKfPfilllf
; %bb.0:
	s_clause 0x4
	s_load_b128 s[4:7], s[0:1], 0x0
	s_load_b32 s3, s[0:1], 0x10
	s_load_b128 s[8:11], s[0:1], 0x18
	s_load_b64 s[20:21], s[0:1], 0x28
	s_load_b64 s[12:13], s[0:1], 0x38
	s_bfe_u32 s2, ttmp6, 0x40014
	s_lshr_b32 s15, ttmp7, 16
	s_add_co_i32 s2, s2, 1
	s_bfe_u32 s16, ttmp6, 0x40010
	s_mul_i32 s2, s15, s2
	s_bfe_u32 s14, ttmp6, 0x40008
	s_and_b32 s17, ttmp7, 0xffff
	s_add_co_i32 s16, s16, 1
	s_bfe_u32 s18, ttmp6, 0x4000c
	s_add_co_i32 s2, s14, s2
	s_mul_i32 s14, s17, s16
	s_bfe_u32 s16, ttmp6, 0x40004
	s_add_co_i32 s18, s18, 1
	s_add_co_i32 s16, s16, s14
	s_and_b32 s14, ttmp6, 15
	s_mul_i32 s18, ttmp9, s18
	s_getreg_b32 s19, hwreg(HW_REG_IB_STS2, 6, 4)
	s_add_co_i32 s14, s14, s18
	s_cmp_eq_u32 s19, 0
	s_mov_b32 s19, 0
	s_cselect_b32 s14, ttmp9, s14
	s_wait_kmcnt 0x0
	v_cmp_gt_i32_e32 vcc_lo, s3, v0
	v_dual_mov_b32 v3, 0 :: v_dual_lshlrev_b32 v2, 2, v0
	s_cselect_b32 s16, s17, s16
	s_cselect_b32 s18, s15, s2
	s_mov_b32 s17, s19
	s_ashr_i32 s15, s14, 31
	s_mul_u64 s[20:21], s[20:21], s[18:19]
	s_mul_u64 s[10:11], s[10:11], s[16:17]
	;; [unrolled: 1-line block ×3, first 2 shown]
	s_and_saveexec_b32 s15, vcc_lo
	s_cbranch_execz .LBB12_4
; %bb.1:
	s_lshl_b64 s[22:23], s[20:21], 2
	s_lshl_b64 s[24:25], s[10:11], 2
	v_dual_mov_b32 v3, 0 :: v_dual_mov_b32 v1, v0
	s_add_nc_u64 s[22:23], s[22:23], s[24:25]
	s_lshl_b64 s[24:25], s[8:9], 2
	s_delay_alu instid0(SALU_CYCLE_1) | instskip(NEXT) | instid1(SALU_CYCLE_1)
	s_add_nc_u64 s[22:23], s[22:23], s[24:25]
	s_add_nc_u64 s[22:23], s[4:5], s[22:23]
	s_delay_alu instid0(SALU_CYCLE_1)
	v_add_nc_u64_e32 v[4:5], s[22:23], v[2:3]
.LBB12_2:                               ; =>This Inner Loop Header: Depth=1
	global_load_b32 v6, v[4:5], off
	v_add_nc_u32_e32 v1, 32, v1
	s_wait_xcnt 0x0
	v_add_nc_u64_e32 v[4:5], 0x80, v[4:5]
	s_wait_loadcnt 0x0
	v_fmac_f32_e32 v3, v6, v6
	v_cmp_le_i32_e64 s2, s3, v1
	s_or_b32 s19, s2, s19
	s_delay_alu instid0(SALU_CYCLE_1)
	s_and_not1_b32 exec_lo, exec_lo, s19
	s_cbranch_execnz .LBB12_2
; %bb.3:
	s_or_b32 exec_lo, exec_lo, s19
.LBB12_4:
	s_delay_alu instid0(SALU_CYCLE_1) | instskip(SKIP_1) | instid1(VALU_DEP_1)
	s_or_b32 exec_lo, exec_lo, s15
	v_mbcnt_lo_u32_b32 v1, -1, 0
	v_xor_b32_e32 v4, 16, v1
	v_xor_b32_e32 v5, 8, v1
	s_delay_alu instid0(VALU_DEP_2) | instskip(NEXT) | instid1(VALU_DEP_1)
	v_cmp_gt_i32_e64 s2, 32, v4
	v_cndmask_b32_e64 v4, v1, v4, s2
	s_delay_alu instid0(VALU_DEP_3) | instskip(NEXT) | instid1(VALU_DEP_1)
	v_cmp_gt_i32_e64 s2, 32, v5
	v_dual_lshlrev_b32 v4, 2, v4 :: v_dual_cndmask_b32 v5, v1, v5, s2
	ds_bpermute_b32 v4, v4, v3
	s_wait_dscnt 0x0
	v_dual_lshlrev_b32 v5, 2, v5 :: v_dual_add_f32 v3, v3, v4
	ds_bpermute_b32 v4, v5, v3
	s_wait_dscnt 0x0
	v_dual_add_f32 v3, v3, v4 :: v_dual_bitop2_b32 v5, 4, v1 bitop3:0x14
	s_delay_alu instid0(VALU_DEP_1) | instskip(NEXT) | instid1(VALU_DEP_1)
	v_cmp_gt_i32_e64 s2, 32, v5
	v_cndmask_b32_e64 v5, v1, v5, s2
	s_delay_alu instid0(VALU_DEP_1) | instskip(SKIP_2) | instid1(VALU_DEP_1)
	v_lshlrev_b32_e32 v5, 2, v5
	ds_bpermute_b32 v4, v5, v3
	v_xor_b32_e32 v5, 2, v1
	v_cmp_gt_i32_e64 s2, 32, v5
	s_delay_alu instid0(VALU_DEP_1) | instskip(SKIP_1) | instid1(VALU_DEP_1)
	v_cndmask_b32_e64 v5, v1, v5, s2
	s_wait_dscnt 0x0
	v_dual_lshlrev_b32 v5, 2, v5 :: v_dual_add_f32 v3, v3, v4
	ds_bpermute_b32 v4, v5, v3
	v_xor_b32_e32 v5, 1, v1
	s_delay_alu instid0(VALU_DEP_1) | instskip(NEXT) | instid1(VALU_DEP_1)
	v_cmp_gt_i32_e64 s2, 32, v5
	v_cndmask_b32_e64 v5, v1, v5, s2
	s_mov_b32 s2, 0
	s_wait_dscnt 0x0
	s_delay_alu instid0(VALU_DEP_1)
	v_dual_add_f32 v1, v3, v4 :: v_dual_lshlrev_b32 v3, 2, v5
	ds_bpermute_b32 v3, v3, v1
	s_and_saveexec_b32 s15, vcc_lo
	s_cbranch_execz .LBB12_7
; %bb.5:
	s_load_b32 s0, s[0:1], 0x30
	s_wait_dscnt 0x0
	v_add_f32_e32 v1, v1, v3
	s_mul_i32 s13, s13, s18
	s_lshl_b64 s[10:11], s[10:11], 2
	s_add_co_i32 s13, s13, s16
	s_lshl_b64 s[8:9], s[8:9], 2
	s_mul_i32 s12, s13, s12
	s_delay_alu instid0(SALU_CYCLE_1) | instskip(NEXT) | instid1(SALU_CYCLE_1)
	s_add_co_i32 s12, s12, s14
	s_mul_i32 s12, s12, s3
	s_delay_alu instid0(SALU_CYCLE_1) | instskip(SKIP_2) | instid1(SALU_CYCLE_3)
	s_ashr_i32 s13, s12, 31
	s_wait_kmcnt 0x0
	s_mul_f32 s0, s0, s0
	v_max_num_f32_e32 v1, s0, v1
	s_lshl_b64 s[0:1], s[20:21], 2
	s_delay_alu instid0(SALU_CYCLE_1) | instskip(NEXT) | instid1(SALU_CYCLE_1)
	s_add_nc_u64 s[0:1], s[0:1], s[10:11]
	s_add_nc_u64 s[0:1], s[0:1], s[8:9]
	s_delay_alu instid0(VALU_DEP_1)
	v_mul_f32_e32 v3, 0x4b800000, v1
	v_cmp_gt_f32_e32 vcc_lo, 0x800000, v1
	s_lshl_b64 s[8:9], s[12:13], 2
	s_add_nc_u64 s[0:1], s[4:5], s[0:1]
	s_add_nc_u64 s[4:5], s[6:7], s[8:9]
	v_dual_cndmask_b32 v1, v1, v3, vcc_lo :: v_dual_mov_b32 v3, 0
	s_delay_alu instid0(VALU_DEP_1) | instskip(NEXT) | instid1(VALU_DEP_1)
	v_rsq_f32_e32 v1, v1
	v_add_nc_u64_e32 v[4:5], s[0:1], v[2:3]
	v_add_nc_u64_e32 v[2:3], s[4:5], v[2:3]
	s_delay_alu instid0(TRANS32_DEP_1) | instskip(NEXT) | instid1(VALU_DEP_1)
	v_mul_f32_e32 v6, 0x45800000, v1
	v_cndmask_b32_e32 v1, v1, v6, vcc_lo
.LBB12_6:                               ; =>This Inner Loop Header: Depth=1
	global_load_b32 v6, v[4:5], off
	v_add_nc_u32_e32 v0, 32, v0
	s_wait_xcnt 0x0
	v_add_nc_u64_e32 v[4:5], 0x80, v[4:5]
	s_wait_loadcnt 0x0
	v_mul_f32_e32 v6, v1, v6
	v_cmp_le_i32_e32 vcc_lo, s3, v0
	global_store_b32 v[2:3], v6, off
	s_wait_xcnt 0x0
	v_add_nc_u64_e32 v[2:3], 0x80, v[2:3]
	s_or_b32 s2, vcc_lo, s2
	s_delay_alu instid0(SALU_CYCLE_1)
	s_and_not1_b32 exec_lo, exec_lo, s2
	s_cbranch_execnz .LBB12_6
.LBB12_7:
	s_endpgm
	.section	.rodata,"a",@progbits
	.p2align	6, 0x0
	.amdhsa_kernel _ZL11l2_norm_f32ILi32EEvPKfPfilllf
		.amdhsa_group_segment_fixed_size 0
		.amdhsa_private_segment_fixed_size 0
		.amdhsa_kernarg_size 312
		.amdhsa_user_sgpr_count 2
		.amdhsa_user_sgpr_dispatch_ptr 0
		.amdhsa_user_sgpr_queue_ptr 0
		.amdhsa_user_sgpr_kernarg_segment_ptr 1
		.amdhsa_user_sgpr_dispatch_id 0
		.amdhsa_user_sgpr_kernarg_preload_length 0
		.amdhsa_user_sgpr_kernarg_preload_offset 0
		.amdhsa_user_sgpr_private_segment_size 0
		.amdhsa_wavefront_size32 1
		.amdhsa_uses_dynamic_stack 0
		.amdhsa_enable_private_segment 0
		.amdhsa_system_sgpr_workgroup_id_x 1
		.amdhsa_system_sgpr_workgroup_id_y 1
		.amdhsa_system_sgpr_workgroup_id_z 1
		.amdhsa_system_sgpr_workgroup_info 0
		.amdhsa_system_vgpr_workitem_id 0
		.amdhsa_next_free_vgpr 7
		.amdhsa_next_free_sgpr 26
		.amdhsa_named_barrier_count 0
		.amdhsa_reserve_vcc 1
		.amdhsa_float_round_mode_32 0
		.amdhsa_float_round_mode_16_64 0
		.amdhsa_float_denorm_mode_32 3
		.amdhsa_float_denorm_mode_16_64 3
		.amdhsa_fp16_overflow 0
		.amdhsa_memory_ordered 1
		.amdhsa_forward_progress 1
		.amdhsa_inst_pref_size 7
		.amdhsa_round_robin_scheduling 0
		.amdhsa_exception_fp_ieee_invalid_op 0
		.amdhsa_exception_fp_denorm_src 0
		.amdhsa_exception_fp_ieee_div_zero 0
		.amdhsa_exception_fp_ieee_overflow 0
		.amdhsa_exception_fp_ieee_underflow 0
		.amdhsa_exception_fp_ieee_inexact 0
		.amdhsa_exception_int_div_zero 0
	.end_amdhsa_kernel
	.section	.text._ZL11l2_norm_f32ILi32EEvPKfPfilllf,"axG",@progbits,_ZL11l2_norm_f32ILi32EEvPKfPfilllf,comdat
.Lfunc_end12:
	.size	_ZL11l2_norm_f32ILi32EEvPKfPfilllf, .Lfunc_end12-_ZL11l2_norm_f32ILi32EEvPKfPfilllf
                                        ; -- End function
	.set _ZL11l2_norm_f32ILi32EEvPKfPfilllf.num_vgpr, 7
	.set _ZL11l2_norm_f32ILi32EEvPKfPfilllf.num_agpr, 0
	.set _ZL11l2_norm_f32ILi32EEvPKfPfilllf.numbered_sgpr, 26
	.set _ZL11l2_norm_f32ILi32EEvPKfPfilllf.num_named_barrier, 0
	.set _ZL11l2_norm_f32ILi32EEvPKfPfilllf.private_seg_size, 0
	.set _ZL11l2_norm_f32ILi32EEvPKfPfilllf.uses_vcc, 1
	.set _ZL11l2_norm_f32ILi32EEvPKfPfilllf.uses_flat_scratch, 0
	.set _ZL11l2_norm_f32ILi32EEvPKfPfilllf.has_dyn_sized_stack, 0
	.set _ZL11l2_norm_f32ILi32EEvPKfPfilllf.has_recursion, 0
	.set _ZL11l2_norm_f32ILi32EEvPKfPfilllf.has_indirect_call, 0
	.section	.AMDGPU.csdata,"",@progbits
; Kernel info:
; codeLenInByte = 824
; TotalNumSgprs: 28
; NumVgprs: 7
; ScratchSize: 0
; MemoryBound: 0
; FloatMode: 240
; IeeeMode: 1
; LDSByteSize: 0 bytes/workgroup (compile time only)
; SGPRBlocks: 0
; VGPRBlocks: 0
; NumSGPRsForWavesPerEU: 28
; NumVGPRsForWavesPerEU: 7
; NamedBarCnt: 0
; Occupancy: 16
; WaveLimiterHint : 0
; COMPUTE_PGM_RSRC2:SCRATCH_EN: 0
; COMPUTE_PGM_RSRC2:USER_SGPR: 2
; COMPUTE_PGM_RSRC2:TRAP_HANDLER: 0
; COMPUTE_PGM_RSRC2:TGID_X_EN: 1
; COMPUTE_PGM_RSRC2:TGID_Y_EN: 1
; COMPUTE_PGM_RSRC2:TGID_Z_EN: 1
; COMPUTE_PGM_RSRC2:TIDIG_COMP_CNT: 0
	.section	.text._ZL11l2_norm_f32ILi1024EEvPKfPfilllf,"axG",@progbits,_ZL11l2_norm_f32ILi1024EEvPKfPfilllf,comdat
	.globl	_ZL11l2_norm_f32ILi1024EEvPKfPfilllf ; -- Begin function _ZL11l2_norm_f32ILi1024EEvPKfPfilllf
	.p2align	8
	.type	_ZL11l2_norm_f32ILi1024EEvPKfPfilllf,@function
_ZL11l2_norm_f32ILi1024EEvPKfPfilllf:   ; @_ZL11l2_norm_f32ILi1024EEvPKfPfilllf
; %bb.0:
	s_clause 0x4
	s_load_b128 s[4:7], s[0:1], 0x0
	s_load_b32 s3, s[0:1], 0x10
	s_load_b128 s[8:11], s[0:1], 0x18
	s_load_b64 s[20:21], s[0:1], 0x28
	s_load_b64 s[12:13], s[0:1], 0x38
	s_bfe_u32 s2, ttmp6, 0x40014
	s_lshr_b32 s15, ttmp7, 16
	s_add_co_i32 s2, s2, 1
	s_bfe_u32 s16, ttmp6, 0x40010
	s_mul_i32 s2, s15, s2
	s_bfe_u32 s14, ttmp6, 0x40008
	s_and_b32 s17, ttmp7, 0xffff
	s_add_co_i32 s16, s16, 1
	s_bfe_u32 s18, ttmp6, 0x4000c
	s_add_co_i32 s2, s14, s2
	s_mul_i32 s14, s17, s16
	s_bfe_u32 s16, ttmp6, 0x40004
	s_add_co_i32 s18, s18, 1
	s_add_co_i32 s16, s16, s14
	s_and_b32 s14, ttmp6, 15
	s_mul_i32 s18, ttmp9, s18
	s_getreg_b32 s19, hwreg(HW_REG_IB_STS2, 6, 4)
	s_add_co_i32 s14, s14, s18
	s_cmp_eq_u32 s19, 0
	s_mov_b32 s19, 0
	s_cselect_b32 s14, ttmp9, s14
	s_wait_kmcnt 0x0
	v_cmp_gt_i32_e32 vcc_lo, s3, v0
	v_dual_mov_b32 v3, 0 :: v_dual_lshlrev_b32 v2, 2, v0
	s_cselect_b32 s16, s17, s16
	s_cselect_b32 s18, s15, s2
	s_mov_b32 s17, s19
	s_ashr_i32 s15, s14, 31
	s_mul_u64 s[20:21], s[20:21], s[18:19]
	s_mul_u64 s[10:11], s[10:11], s[16:17]
	;; [unrolled: 1-line block ×3, first 2 shown]
	s_and_saveexec_b32 s15, vcc_lo
	s_cbranch_execz .LBB13_4
; %bb.1:
	s_lshl_b64 s[22:23], s[20:21], 2
	s_lshl_b64 s[24:25], s[10:11], 2
	v_dual_mov_b32 v3, 0 :: v_dual_mov_b32 v1, v0
	s_add_nc_u64 s[22:23], s[22:23], s[24:25]
	s_lshl_b64 s[24:25], s[8:9], 2
	s_delay_alu instid0(SALU_CYCLE_1) | instskip(NEXT) | instid1(SALU_CYCLE_1)
	s_add_nc_u64 s[22:23], s[22:23], s[24:25]
	s_add_nc_u64 s[22:23], s[4:5], s[22:23]
	s_delay_alu instid0(SALU_CYCLE_1)
	v_add_nc_u64_e32 v[4:5], s[22:23], v[2:3]
.LBB13_2:                               ; =>This Inner Loop Header: Depth=1
	global_load_b32 v6, v[4:5], off
	v_add_nc_u32_e32 v1, 0x400, v1
	s_wait_xcnt 0x0
	v_add_nc_u64_e32 v[4:5], 0x1000, v[4:5]
	s_delay_alu instid0(VALU_DEP_2)
	v_cmp_le_i32_e64 s2, s3, v1
	s_or_b32 s19, s2, s19
	s_wait_loadcnt 0x0
	v_fmac_f32_e32 v3, v6, v6
	s_and_not1_b32 exec_lo, exec_lo, s19
	s_cbranch_execnz .LBB13_2
; %bb.3:
	s_or_b32 exec_lo, exec_lo, s19
.LBB13_4:
	s_delay_alu instid0(SALU_CYCLE_1) | instskip(SKIP_2) | instid1(VALU_DEP_1)
	s_or_b32 exec_lo, exec_lo, s15
	v_mbcnt_lo_u32_b32 v6, -1, 0
	s_mov_b32 s15, exec_lo
	v_xor_b32_e32 v4, 8, v6
	v_xor_b32_e32 v1, 16, v6
	;; [unrolled: 1-line block ×3, first 2 shown]
	s_delay_alu instid0(VALU_DEP_2) | instskip(NEXT) | instid1(VALU_DEP_1)
	v_cmp_gt_i32_e64 s2, 32, v1
	v_cndmask_b32_e64 v1, v6, v1, s2
	v_cmp_gt_i32_e64 s2, 32, v4
	s_delay_alu instid0(VALU_DEP_1) | instskip(NEXT) | instid1(VALU_DEP_1)
	v_cndmask_b32_e64 v4, v6, v4, s2
	v_dual_lshlrev_b32 v4, 2, v4 :: v_dual_lshlrev_b32 v1, 2, v1
	ds_bpermute_b32 v5, v1, v3
	s_wait_dscnt 0x0
	v_dual_add_f32 v5, v3, v5 :: v_dual_bitop2_b32 v3, 4, v6 bitop3:0x14
	ds_bpermute_b32 v7, v4, v5
	v_cmp_gt_i32_e64 s2, 32, v3
	s_delay_alu instid0(VALU_DEP_1) | instskip(SKIP_2) | instid1(VALU_DEP_1)
	v_cndmask_b32_e64 v3, v6, v3, s2
	s_wait_dscnt 0x0
	v_dual_add_f32 v7, v5, v7 :: v_dual_bitop2_b32 v5, 2, v6 bitop3:0x14
	v_cmp_gt_i32_e64 s2, 32, v5
	s_delay_alu instid0(VALU_DEP_1) | instskip(SKIP_1) | instid1(VALU_DEP_2)
	v_dual_lshlrev_b32 v3, 2, v3 :: v_dual_cndmask_b32 v5, v6, v5, s2
	v_cmp_gt_i32_e64 s2, 32, v9
	v_lshlrev_b32_e32 v5, 2, v5
	ds_bpermute_b32 v8, v3, v7
	s_wait_dscnt 0x0
	v_add_f32_e32 v7, v7, v8
	ds_bpermute_b32 v8, v5, v7
	s_wait_dscnt 0x0
	v_dual_cndmask_b32 v6, v6, v9, s2 :: v_dual_add_f32 v8, v7, v8
	s_delay_alu instid0(VALU_DEP_1)
	v_dual_lshlrev_b32 v6, 2, v6 :: v_dual_bitop2_b32 v7, 31, v0 bitop3:0x40
	ds_bpermute_b32 v9, v6, v8
	v_cmpx_eq_u32_e32 0, v7
	s_cbranch_execz .LBB13_6
; %bb.5:
	s_wait_dscnt 0x0
	v_dual_lshrrev_b32 v10, 3, v0 :: v_dual_add_f32 v8, v8, v9
	s_delay_alu instid0(VALU_DEP_1)
	v_add_nc_u32_e32 v9, 0, v10
	ds_store_b32 v9, v8
.LBB13_6:
	s_or_b32 exec_lo, exec_lo, s15
	v_lshl_add_u32 v7, v7, 2, 0
	s_wait_dscnt 0x0
	s_barrier_signal -1
	s_barrier_wait -1
	ds_load_b32 v7, v7
	s_wait_dscnt 0x0
	ds_bpermute_b32 v1, v1, v7
	s_wait_dscnt 0x0
	v_add_f32_e32 v1, v7, v1
	ds_bpermute_b32 v4, v4, v1
	s_wait_dscnt 0x0
	v_add_f32_e32 v1, v1, v4
	ds_bpermute_b32 v3, v3, v1
	s_wait_dscnt 0x0
	v_add_f32_e32 v1, v1, v3
	ds_bpermute_b32 v3, v5, v1
	s_wait_dscnt 0x0
	v_add_f32_e32 v1, v1, v3
	ds_bpermute_b32 v3, v6, v1
	s_and_saveexec_b32 s2, vcc_lo
	s_cbranch_execz .LBB13_9
; %bb.7:
	s_load_b32 s0, s[0:1], 0x30
	s_wait_dscnt 0x0
	v_add_f32_e32 v1, v1, v3
	s_mul_i32 s2, s13, s18
	s_lshl_b64 s[10:11], s[10:11], 2
	s_add_co_i32 s2, s2, s16
	s_lshl_b64 s[8:9], s[8:9], 2
	s_mul_i32 s2, s2, s12
	s_delay_alu instid0(SALU_CYCLE_1) | instskip(NEXT) | instid1(SALU_CYCLE_1)
	s_add_co_i32 s2, s2, s14
	s_mul_i32 s12, s2, s3
	s_delay_alu instid0(SALU_CYCLE_1) | instskip(SKIP_2) | instid1(SALU_CYCLE_3)
	s_ashr_i32 s13, s12, 31
	s_wait_kmcnt 0x0
	s_mul_f32 s0, s0, s0
	v_max_num_f32_e32 v1, s0, v1
	s_lshl_b64 s[0:1], s[20:21], 2
	s_delay_alu instid0(SALU_CYCLE_1) | instskip(NEXT) | instid1(SALU_CYCLE_1)
	s_add_nc_u64 s[0:1], s[0:1], s[10:11]
	s_add_nc_u64 s[0:1], s[0:1], s[8:9]
	s_delay_alu instid0(VALU_DEP_1)
	v_mul_f32_e32 v3, 0x4b800000, v1
	v_cmp_gt_f32_e32 vcc_lo, 0x800000, v1
	s_lshl_b64 s[8:9], s[12:13], 2
	s_add_nc_u64 s[0:1], s[4:5], s[0:1]
	s_add_nc_u64 s[4:5], s[6:7], s[8:9]
	v_dual_cndmask_b32 v1, v1, v3, vcc_lo :: v_dual_mov_b32 v3, 0
	s_delay_alu instid0(VALU_DEP_1) | instskip(NEXT) | instid1(VALU_DEP_1)
	v_rsq_f32_e32 v1, v1
	v_add_nc_u64_e32 v[4:5], s[0:1], v[2:3]
	v_add_nc_u64_e32 v[2:3], s[4:5], v[2:3]
	s_mov_b32 s0, 0
	s_delay_alu instid0(TRANS32_DEP_1) | instskip(NEXT) | instid1(VALU_DEP_1)
	v_mul_f32_e32 v6, 0x45800000, v1
	v_cndmask_b32_e32 v1, v1, v6, vcc_lo
.LBB13_8:                               ; =>This Inner Loop Header: Depth=1
	global_load_b32 v6, v[4:5], off
	v_add_nc_u32_e32 v0, 0x400, v0
	s_wait_xcnt 0x0
	v_add_nc_u64_e32 v[4:5], 0x1000, v[4:5]
	s_delay_alu instid0(VALU_DEP_2)
	v_cmp_le_i32_e32 vcc_lo, s3, v0
	s_or_b32 s0, vcc_lo, s0
	s_wait_loadcnt 0x0
	v_mul_f32_e32 v6, v1, v6
	global_store_b32 v[2:3], v6, off
	s_wait_xcnt 0x0
	v_add_nc_u64_e32 v[2:3], 0x1000, v[2:3]
	s_and_not1_b32 exec_lo, exec_lo, s0
	s_cbranch_execnz .LBB13_8
.LBB13_9:
	s_endpgm
	.section	.rodata,"a",@progbits
	.p2align	6, 0x0
	.amdhsa_kernel _ZL11l2_norm_f32ILi1024EEvPKfPfilllf
		.amdhsa_group_segment_fixed_size 0
		.amdhsa_private_segment_fixed_size 0
		.amdhsa_kernarg_size 312
		.amdhsa_user_sgpr_count 2
		.amdhsa_user_sgpr_dispatch_ptr 0
		.amdhsa_user_sgpr_queue_ptr 0
		.amdhsa_user_sgpr_kernarg_segment_ptr 1
		.amdhsa_user_sgpr_dispatch_id 0
		.amdhsa_user_sgpr_kernarg_preload_length 0
		.amdhsa_user_sgpr_kernarg_preload_offset 0
		.amdhsa_user_sgpr_private_segment_size 0
		.amdhsa_wavefront_size32 1
		.amdhsa_uses_dynamic_stack 0
		.amdhsa_enable_private_segment 0
		.amdhsa_system_sgpr_workgroup_id_x 1
		.amdhsa_system_sgpr_workgroup_id_y 1
		.amdhsa_system_sgpr_workgroup_id_z 1
		.amdhsa_system_sgpr_workgroup_info 0
		.amdhsa_system_vgpr_workitem_id 0
		.amdhsa_next_free_vgpr 11
		.amdhsa_next_free_sgpr 26
		.amdhsa_named_barrier_count 0
		.amdhsa_reserve_vcc 1
		.amdhsa_float_round_mode_32 0
		.amdhsa_float_round_mode_16_64 0
		.amdhsa_float_denorm_mode_32 3
		.amdhsa_float_denorm_mode_16_64 3
		.amdhsa_fp16_overflow 0
		.amdhsa_memory_ordered 1
		.amdhsa_forward_progress 1
		.amdhsa_inst_pref_size 8
		.amdhsa_round_robin_scheduling 0
		.amdhsa_exception_fp_ieee_invalid_op 0
		.amdhsa_exception_fp_denorm_src 0
		.amdhsa_exception_fp_ieee_div_zero 0
		.amdhsa_exception_fp_ieee_overflow 0
		.amdhsa_exception_fp_ieee_underflow 0
		.amdhsa_exception_fp_ieee_inexact 0
		.amdhsa_exception_int_div_zero 0
	.end_amdhsa_kernel
	.section	.text._ZL11l2_norm_f32ILi1024EEvPKfPfilllf,"axG",@progbits,_ZL11l2_norm_f32ILi1024EEvPKfPfilllf,comdat
.Lfunc_end13:
	.size	_ZL11l2_norm_f32ILi1024EEvPKfPfilllf, .Lfunc_end13-_ZL11l2_norm_f32ILi1024EEvPKfPfilllf
                                        ; -- End function
	.set _ZL11l2_norm_f32ILi1024EEvPKfPfilllf.num_vgpr, 11
	.set _ZL11l2_norm_f32ILi1024EEvPKfPfilllf.num_agpr, 0
	.set _ZL11l2_norm_f32ILi1024EEvPKfPfilllf.numbered_sgpr, 26
	.set _ZL11l2_norm_f32ILi1024EEvPKfPfilllf.num_named_barrier, 0
	.set _ZL11l2_norm_f32ILi1024EEvPKfPfilllf.private_seg_size, 0
	.set _ZL11l2_norm_f32ILi1024EEvPKfPfilllf.uses_vcc, 1
	.set _ZL11l2_norm_f32ILi1024EEvPKfPfilllf.uses_flat_scratch, 0
	.set _ZL11l2_norm_f32ILi1024EEvPKfPfilllf.has_dyn_sized_stack, 0
	.set _ZL11l2_norm_f32ILi1024EEvPKfPfilllf.has_recursion, 0
	.set _ZL11l2_norm_f32ILi1024EEvPKfPfilllf.has_indirect_call, 0
	.section	.AMDGPU.csdata,"",@progbits
; Kernel info:
; codeLenInByte = 980
; TotalNumSgprs: 28
; NumVgprs: 11
; ScratchSize: 0
; MemoryBound: 0
; FloatMode: 240
; IeeeMode: 1
; LDSByteSize: 0 bytes/workgroup (compile time only)
; SGPRBlocks: 0
; VGPRBlocks: 0
; NumSGPRsForWavesPerEU: 28
; NumVGPRsForWavesPerEU: 11
; NamedBarCnt: 0
; Occupancy: 16
; WaveLimiterHint : 0
; COMPUTE_PGM_RSRC2:SCRATCH_EN: 0
; COMPUTE_PGM_RSRC2:USER_SGPR: 2
; COMPUTE_PGM_RSRC2:TRAP_HANDLER: 0
; COMPUTE_PGM_RSRC2:TGID_X_EN: 1
; COMPUTE_PGM_RSRC2:TGID_Y_EN: 1
; COMPUTE_PGM_RSRC2:TGID_Z_EN: 1
; COMPUTE_PGM_RSRC2:TIDIG_COMP_CNT: 0
	.section	.AMDGPU.gpr_maximums,"",@progbits
	.set amdgpu.max_num_vgpr, 0
	.set amdgpu.max_num_agpr, 0
	.set amdgpu.max_num_sgpr, 0
	.section	.AMDGPU.csdata,"",@progbits
	.type	__hip_cuid_91660373f01cac7c,@object ; @__hip_cuid_91660373f01cac7c
	.section	.bss,"aw",@nobits
	.globl	__hip_cuid_91660373f01cac7c
__hip_cuid_91660373f01cac7c:
	.byte	0                               ; 0x0
	.size	__hip_cuid_91660373f01cac7c, 1

	.ident	"AMD clang version 22.0.0git (https://github.com/RadeonOpenCompute/llvm-project roc-7.2.4 26084 f58b06dce1f9c15707c5f808fd002e18c2accf7e)"
	.section	".note.GNU-stack","",@progbits
	.addrsig
	.addrsig_sym __hip_cuid_91660373f01cac7c
	.amdgpu_metadata
---
amdhsa.kernels:
  - .args:
      - .address_space:  global
        .offset:         0
        .size:           8
        .value_kind:     global_buffer
      - .address_space:  global
        .offset:         8
        .size:           8
        .value_kind:     global_buffer
      - .offset:         16
        .size:           4
        .value_kind:     by_value
      - .offset:         24
        .size:           8
        .value_kind:     by_value
      - .offset:         32
        .size:           8
        .value_kind:     by_value
      - .offset:         40
        .size:           8
        .value_kind:     by_value
      - .offset:         48
        .size:           4
        .value_kind:     by_value
      - .offset:         56
        .size:           4
        .value_kind:     hidden_block_count_x
      - .offset:         60
        .size:           4
        .value_kind:     hidden_block_count_y
      - .offset:         64
        .size:           4
        .value_kind:     hidden_block_count_z
      - .offset:         68
        .size:           2
        .value_kind:     hidden_group_size_x
      - .offset:         70
        .size:           2
        .value_kind:     hidden_group_size_y
      - .offset:         72
        .size:           2
        .value_kind:     hidden_group_size_z
      - .offset:         74
        .size:           2
        .value_kind:     hidden_remainder_x
      - .offset:         76
        .size:           2
        .value_kind:     hidden_remainder_y
      - .offset:         78
        .size:           2
        .value_kind:     hidden_remainder_z
      - .offset:         96
        .size:           8
        .value_kind:     hidden_global_offset_x
      - .offset:         104
        .size:           8
        .value_kind:     hidden_global_offset_y
      - .offset:         112
        .size:           8
        .value_kind:     hidden_global_offset_z
      - .offset:         120
        .size:           2
        .value_kind:     hidden_grid_dims
    .group_segment_fixed_size: 0
    .kernarg_segment_align: 8
    .kernarg_segment_size: 312
    .language:       OpenCL C
    .language_version:
      - 2
      - 0
    .max_flat_workgroup_size: 1024
    .name:           _ZL8norm_f32ILi32EEvPKfPfilllf
    .private_segment_fixed_size: 0
    .sgpr_count:     28
    .sgpr_spill_count: 0
    .symbol:         _ZL8norm_f32ILi32EEvPKfPfilllf.kd
    .uniform_work_group_size: 1
    .uses_dynamic_stack: false
    .vgpr_count:     14
    .vgpr_spill_count: 0
    .wavefront_size: 32
  - .args:
      - .address_space:  global
        .offset:         0
        .size:           8
        .value_kind:     global_buffer
      - .address_space:  global
        .offset:         8
        .size:           8
        .value_kind:     global_buffer
      - .offset:         16
        .size:           4
        .value_kind:     by_value
      - .offset:         24
        .size:           8
        .value_kind:     by_value
      - .offset:         32
        .size:           8
        .value_kind:     by_value
      - .offset:         40
        .size:           8
        .value_kind:     by_value
      - .offset:         48
        .size:           4
        .value_kind:     by_value
      - .offset:         56
        .size:           4
        .value_kind:     hidden_block_count_x
      - .offset:         60
        .size:           4
        .value_kind:     hidden_block_count_y
      - .offset:         64
        .size:           4
        .value_kind:     hidden_block_count_z
      - .offset:         68
        .size:           2
        .value_kind:     hidden_group_size_x
      - .offset:         70
        .size:           2
        .value_kind:     hidden_group_size_y
      - .offset:         72
        .size:           2
        .value_kind:     hidden_group_size_z
      - .offset:         74
        .size:           2
        .value_kind:     hidden_remainder_x
      - .offset:         76
        .size:           2
        .value_kind:     hidden_remainder_y
      - .offset:         78
        .size:           2
        .value_kind:     hidden_remainder_z
      - .offset:         96
        .size:           8
        .value_kind:     hidden_global_offset_x
      - .offset:         104
        .size:           8
        .value_kind:     hidden_global_offset_y
      - .offset:         112
        .size:           8
        .value_kind:     hidden_global_offset_z
      - .offset:         120
        .size:           2
        .value_kind:     hidden_grid_dims
      - .offset:         176
        .size:           4
        .value_kind:     hidden_dynamic_lds_size
    .group_segment_fixed_size: 0
    .kernarg_segment_align: 8
    .kernarg_segment_size: 312
    .language:       OpenCL C
    .language_version:
      - 2
      - 0
    .max_flat_workgroup_size: 1024
    .name:           _ZL8norm_f32ILi1024EEvPKfPfilllf
    .private_segment_fixed_size: 0
    .sgpr_count:     28
    .sgpr_spill_count: 0
    .symbol:         _ZL8norm_f32ILi1024EEvPKfPfilllf.kd
    .uniform_work_group_size: 1
    .uses_dynamic_stack: false
    .vgpr_count:     14
    .vgpr_spill_count: 0
    .wavefront_size: 32
  - .args:
      - .address_space:  global
        .offset:         0
        .size:           8
        .value_kind:     global_buffer
      - .address_space:  global
        .offset:         8
        .size:           8
        .value_kind:     global_buffer
      - .offset:         16
        .size:           4
        .value_kind:     by_value
      - .offset:         20
        .size:           4
        .value_kind:     by_value
      - .offset:         24
        .size:           4
        .value_kind:     by_value
    .group_segment_fixed_size: 0
    .kernarg_segment_align: 8
    .kernarg_segment_size: 28
    .language:       OpenCL C
    .language_version:
      - 2
      - 0
    .max_flat_workgroup_size: 1024
    .name:           _ZL14group_norm_f32ILi32EEvPKfPfiif
    .private_segment_fixed_size: 0
    .sgpr_count:     13
    .sgpr_spill_count: 0
    .symbol:         _ZL14group_norm_f32ILi32EEvPKfPfiif.kd
    .uniform_work_group_size: 1
    .uses_dynamic_stack: false
    .vgpr_count:     16
    .vgpr_spill_count: 0
    .wavefront_size: 32
  - .args:
      - .address_space:  global
        .offset:         0
        .size:           8
        .value_kind:     global_buffer
      - .address_space:  global
        .offset:         8
        .size:           8
        .value_kind:     global_buffer
      - .offset:         16
        .size:           4
        .value_kind:     by_value
      - .offset:         20
        .size:           4
        .value_kind:     by_value
      - .offset:         24
        .size:           4
        .value_kind:     by_value
    .group_segment_fixed_size: 0
    .kernarg_segment_align: 8
    .kernarg_segment_size: 28
    .language:       OpenCL C
    .language_version:
      - 2
      - 0
    .max_flat_workgroup_size: 1024
    .name:           _ZL14group_norm_f32ILi1024EEvPKfPfiif
    .private_segment_fixed_size: 0
    .sgpr_count:     13
    .sgpr_spill_count: 0
    .symbol:         _ZL14group_norm_f32ILi1024EEvPKfPfiif.kd
    .uniform_work_group_size: 1
    .uses_dynamic_stack: false
    .vgpr_count:     18
    .vgpr_spill_count: 0
    .wavefront_size: 32
  - .args:
      - .address_space:  global
        .offset:         0
        .size:           8
        .value_kind:     global_buffer
      - .address_space:  global
        .offset:         8
        .size:           8
        .value_kind:     global_buffer
      - .offset:         16
        .size:           4
        .value_kind:     by_value
      - .offset:         24
        .size:           8
        .value_kind:     by_value
      - .offset:         32
        .size:           8
        .value_kind:     by_value
      - .offset:         40
        .size:           8
        .value_kind:     by_value
      - .offset:         48
        .size:           4
        .value_kind:     by_value
      - .address_space:  global
        .offset:         56
        .size:           8
        .value_kind:     global_buffer
      - .offset:         64
        .size:           8
        .value_kind:     by_value
      - .offset:         72
        .size:           8
        .value_kind:     by_value
      - .offset:         80
        .size:           8
        .value_kind:     by_value
      - .offset:         88
        .size:           12
        .value_kind:     by_value
      - .offset:         100
        .size:           12
        .value_kind:     by_value
      - .offset:         112
        .size:           12
        .value_kind:     by_value
      - .offset:         124
        .size:           12
        .value_kind:     by_value
      - .address_space:  global
        .offset:         136
        .size:           8
        .value_kind:     global_buffer
      - .offset:         144
        .size:           8
        .value_kind:     by_value
      - .offset:         152
        .size:           8
        .value_kind:     by_value
      - .offset:         160
        .size:           8
        .value_kind:     by_value
      - .offset:         168
        .size:           12
        .value_kind:     by_value
      - .offset:         180
        .size:           12
        .value_kind:     by_value
      - .offset:         192
        .size:           12
        .value_kind:     by_value
      - .offset:         204
        .size:           12
        .value_kind:     by_value
      - .offset:         216
        .size:           4
        .value_kind:     hidden_block_count_x
      - .offset:         220
        .size:           4
        .value_kind:     hidden_block_count_y
      - .offset:         224
        .size:           4
        .value_kind:     hidden_block_count_z
      - .offset:         228
        .size:           2
        .value_kind:     hidden_group_size_x
      - .offset:         230
        .size:           2
        .value_kind:     hidden_group_size_y
      - .offset:         232
        .size:           2
        .value_kind:     hidden_group_size_z
      - .offset:         234
        .size:           2
        .value_kind:     hidden_remainder_x
      - .offset:         236
        .size:           2
        .value_kind:     hidden_remainder_y
      - .offset:         238
        .size:           2
        .value_kind:     hidden_remainder_z
      - .offset:         256
        .size:           8
        .value_kind:     hidden_global_offset_x
      - .offset:         264
        .size:           8
        .value_kind:     hidden_global_offset_y
      - .offset:         272
        .size:           8
        .value_kind:     hidden_global_offset_z
      - .offset:         280
        .size:           2
        .value_kind:     hidden_grid_dims
      - .offset:         336
        .size:           4
        .value_kind:     hidden_dynamic_lds_size
    .group_segment_fixed_size: 0
    .kernarg_segment_align: 8
    .kernarg_segment_size: 472
    .language:       OpenCL C
    .language_version:
      - 2
      - 0
    .max_flat_workgroup_size: 1024
    .name:           _ZL12rms_norm_f32ILi256ELb0ELb0EEvPKfPfilllfS1_lll15HIP_vector_typeIjLj3EES4_S4_S4_S1_lllS4_S4_S4_S4_
    .private_segment_fixed_size: 0
    .sgpr_count:     28
    .sgpr_spill_count: 0
    .symbol:         _ZL12rms_norm_f32ILi256ELb0ELb0EEvPKfPfilllfS1_lll15HIP_vector_typeIjLj3EES4_S4_S4_S1_lllS4_S4_S4_S4_.kd
    .uniform_work_group_size: 1
    .uses_dynamic_stack: false
    .vgpr_count:     11
    .vgpr_spill_count: 0
    .wavefront_size: 32
  - .args:
      - .address_space:  global
        .offset:         0
        .size:           8
        .value_kind:     global_buffer
      - .address_space:  global
        .offset:         8
        .size:           8
        .value_kind:     global_buffer
      - .offset:         16
        .size:           4
        .value_kind:     by_value
      - .offset:         24
        .size:           8
        .value_kind:     by_value
      - .offset:         32
        .size:           8
        .value_kind:     by_value
      - .offset:         40
        .size:           8
        .value_kind:     by_value
      - .offset:         48
        .size:           4
        .value_kind:     by_value
      - .address_space:  global
        .offset:         56
        .size:           8
        .value_kind:     global_buffer
      - .offset:         64
        .size:           8
        .value_kind:     by_value
      - .offset:         72
        .size:           8
        .value_kind:     by_value
      - .offset:         80
        .size:           8
        .value_kind:     by_value
      - .offset:         88
        .size:           12
        .value_kind:     by_value
      - .offset:         100
        .size:           12
        .value_kind:     by_value
      - .offset:         112
        .size:           12
        .value_kind:     by_value
      - .offset:         124
        .size:           12
        .value_kind:     by_value
      - .address_space:  global
        .offset:         136
        .size:           8
        .value_kind:     global_buffer
      - .offset:         144
        .size:           8
        .value_kind:     by_value
      - .offset:         152
        .size:           8
        .value_kind:     by_value
      - .offset:         160
        .size:           8
        .value_kind:     by_value
      - .offset:         168
        .size:           12
        .value_kind:     by_value
      - .offset:         180
        .size:           12
        .value_kind:     by_value
      - .offset:         192
        .size:           12
        .value_kind:     by_value
      - .offset:         204
        .size:           12
        .value_kind:     by_value
      - .offset:         216
        .size:           4
        .value_kind:     hidden_block_count_x
      - .offset:         220
        .size:           4
        .value_kind:     hidden_block_count_y
      - .offset:         224
        .size:           4
        .value_kind:     hidden_block_count_z
      - .offset:         228
        .size:           2
        .value_kind:     hidden_group_size_x
      - .offset:         230
        .size:           2
        .value_kind:     hidden_group_size_y
      - .offset:         232
        .size:           2
        .value_kind:     hidden_group_size_z
      - .offset:         234
        .size:           2
        .value_kind:     hidden_remainder_x
      - .offset:         236
        .size:           2
        .value_kind:     hidden_remainder_y
      - .offset:         238
        .size:           2
        .value_kind:     hidden_remainder_z
      - .offset:         256
        .size:           8
        .value_kind:     hidden_global_offset_x
      - .offset:         264
        .size:           8
        .value_kind:     hidden_global_offset_y
      - .offset:         272
        .size:           8
        .value_kind:     hidden_global_offset_z
      - .offset:         280
        .size:           2
        .value_kind:     hidden_grid_dims
      - .offset:         336
        .size:           4
        .value_kind:     hidden_dynamic_lds_size
    .group_segment_fixed_size: 0
    .kernarg_segment_align: 8
    .kernarg_segment_size: 472
    .language:       OpenCL C
    .language_version:
      - 2
      - 0
    .max_flat_workgroup_size: 1024
    .name:           _ZL12rms_norm_f32ILi1024ELb0ELb0EEvPKfPfilllfS1_lll15HIP_vector_typeIjLj3EES4_S4_S4_S1_lllS4_S4_S4_S4_
    .private_segment_fixed_size: 0
    .sgpr_count:     28
    .sgpr_spill_count: 0
    .symbol:         _ZL12rms_norm_f32ILi1024ELb0ELb0EEvPKfPfilllfS1_lll15HIP_vector_typeIjLj3EES4_S4_S4_S1_lllS4_S4_S4_S4_.kd
    .uniform_work_group_size: 1
    .uses_dynamic_stack: false
    .vgpr_count:     11
    .vgpr_spill_count: 0
    .wavefront_size: 32
  - .args:
      - .address_space:  global
        .offset:         0
        .size:           8
        .value_kind:     global_buffer
      - .address_space:  global
        .offset:         8
        .size:           8
        .value_kind:     global_buffer
      - .offset:         16
        .size:           4
        .value_kind:     by_value
      - .offset:         24
        .size:           8
        .value_kind:     by_value
      - .offset:         32
        .size:           8
        .value_kind:     by_value
      - .offset:         40
        .size:           8
        .value_kind:     by_value
      - .offset:         48
        .size:           4
        .value_kind:     by_value
      - .address_space:  global
        .offset:         56
        .size:           8
        .value_kind:     global_buffer
      - .offset:         64
        .size:           8
        .value_kind:     by_value
      - .offset:         72
        .size:           8
        .value_kind:     by_value
      - .offset:         80
        .size:           8
        .value_kind:     by_value
      - .offset:         88
        .size:           12
        .value_kind:     by_value
      - .offset:         100
        .size:           12
        .value_kind:     by_value
      - .offset:         112
        .size:           12
        .value_kind:     by_value
      - .offset:         124
        .size:           12
        .value_kind:     by_value
      - .address_space:  global
        .offset:         136
        .size:           8
        .value_kind:     global_buffer
      - .offset:         144
        .size:           8
        .value_kind:     by_value
      - .offset:         152
        .size:           8
        .value_kind:     by_value
      - .offset:         160
        .size:           8
        .value_kind:     by_value
      - .offset:         168
        .size:           12
        .value_kind:     by_value
      - .offset:         180
        .size:           12
        .value_kind:     by_value
      - .offset:         192
        .size:           12
        .value_kind:     by_value
      - .offset:         204
        .size:           12
        .value_kind:     by_value
      - .offset:         216
        .size:           4
        .value_kind:     hidden_block_count_x
      - .offset:         220
        .size:           4
        .value_kind:     hidden_block_count_y
      - .offset:         224
        .size:           4
        .value_kind:     hidden_block_count_z
      - .offset:         228
        .size:           2
        .value_kind:     hidden_group_size_x
      - .offset:         230
        .size:           2
        .value_kind:     hidden_group_size_y
      - .offset:         232
        .size:           2
        .value_kind:     hidden_group_size_z
      - .offset:         234
        .size:           2
        .value_kind:     hidden_remainder_x
      - .offset:         236
        .size:           2
        .value_kind:     hidden_remainder_y
      - .offset:         238
        .size:           2
        .value_kind:     hidden_remainder_z
      - .offset:         256
        .size:           8
        .value_kind:     hidden_global_offset_x
      - .offset:         264
        .size:           8
        .value_kind:     hidden_global_offset_y
      - .offset:         272
        .size:           8
        .value_kind:     hidden_global_offset_z
      - .offset:         280
        .size:           2
        .value_kind:     hidden_grid_dims
      - .offset:         336
        .size:           4
        .value_kind:     hidden_dynamic_lds_size
    .group_segment_fixed_size: 0
    .kernarg_segment_align: 8
    .kernarg_segment_size: 472
    .language:       OpenCL C
    .language_version:
      - 2
      - 0
    .max_flat_workgroup_size: 1024
    .name:           _ZL12rms_norm_f32ILi256ELb1ELb0EEvPKfPfilllfS1_lll15HIP_vector_typeIjLj3EES4_S4_S4_S1_lllS4_S4_S4_S4_
    .private_segment_fixed_size: 0
    .sgpr_count:     46
    .sgpr_spill_count: 0
    .symbol:         _ZL12rms_norm_f32ILi256ELb1ELb0EEvPKfPfilllfS1_lll15HIP_vector_typeIjLj3EES4_S4_S4_S1_lllS4_S4_S4_S4_.kd
    .uniform_work_group_size: 1
    .uses_dynamic_stack: false
    .vgpr_count:     11
    .vgpr_spill_count: 0
    .wavefront_size: 32
  - .args:
      - .address_space:  global
        .offset:         0
        .size:           8
        .value_kind:     global_buffer
      - .address_space:  global
        .offset:         8
        .size:           8
        .value_kind:     global_buffer
      - .offset:         16
        .size:           4
        .value_kind:     by_value
      - .offset:         24
        .size:           8
        .value_kind:     by_value
      - .offset:         32
        .size:           8
        .value_kind:     by_value
      - .offset:         40
        .size:           8
        .value_kind:     by_value
      - .offset:         48
        .size:           4
        .value_kind:     by_value
      - .address_space:  global
        .offset:         56
        .size:           8
        .value_kind:     global_buffer
      - .offset:         64
        .size:           8
        .value_kind:     by_value
      - .offset:         72
        .size:           8
        .value_kind:     by_value
      - .offset:         80
        .size:           8
        .value_kind:     by_value
      - .offset:         88
        .size:           12
        .value_kind:     by_value
      - .offset:         100
        .size:           12
        .value_kind:     by_value
      - .offset:         112
        .size:           12
        .value_kind:     by_value
      - .offset:         124
        .size:           12
        .value_kind:     by_value
      - .address_space:  global
        .offset:         136
        .size:           8
        .value_kind:     global_buffer
      - .offset:         144
        .size:           8
        .value_kind:     by_value
      - .offset:         152
        .size:           8
        .value_kind:     by_value
      - .offset:         160
        .size:           8
        .value_kind:     by_value
      - .offset:         168
        .size:           12
        .value_kind:     by_value
      - .offset:         180
        .size:           12
        .value_kind:     by_value
      - .offset:         192
        .size:           12
        .value_kind:     by_value
      - .offset:         204
        .size:           12
        .value_kind:     by_value
      - .offset:         216
        .size:           4
        .value_kind:     hidden_block_count_x
      - .offset:         220
        .size:           4
        .value_kind:     hidden_block_count_y
      - .offset:         224
        .size:           4
        .value_kind:     hidden_block_count_z
      - .offset:         228
        .size:           2
        .value_kind:     hidden_group_size_x
      - .offset:         230
        .size:           2
        .value_kind:     hidden_group_size_y
      - .offset:         232
        .size:           2
        .value_kind:     hidden_group_size_z
      - .offset:         234
        .size:           2
        .value_kind:     hidden_remainder_x
      - .offset:         236
        .size:           2
        .value_kind:     hidden_remainder_y
      - .offset:         238
        .size:           2
        .value_kind:     hidden_remainder_z
      - .offset:         256
        .size:           8
        .value_kind:     hidden_global_offset_x
      - .offset:         264
        .size:           8
        .value_kind:     hidden_global_offset_y
      - .offset:         272
        .size:           8
        .value_kind:     hidden_global_offset_z
      - .offset:         280
        .size:           2
        .value_kind:     hidden_grid_dims
      - .offset:         336
        .size:           4
        .value_kind:     hidden_dynamic_lds_size
    .group_segment_fixed_size: 0
    .kernarg_segment_align: 8
    .kernarg_segment_size: 472
    .language:       OpenCL C
    .language_version:
      - 2
      - 0
    .max_flat_workgroup_size: 1024
    .name:           _ZL12rms_norm_f32ILi1024ELb1ELb0EEvPKfPfilllfS1_lll15HIP_vector_typeIjLj3EES4_S4_S4_S1_lllS4_S4_S4_S4_
    .private_segment_fixed_size: 0
    .sgpr_count:     46
    .sgpr_spill_count: 0
    .symbol:         _ZL12rms_norm_f32ILi1024ELb1ELb0EEvPKfPfilllfS1_lll15HIP_vector_typeIjLj3EES4_S4_S4_S1_lllS4_S4_S4_S4_.kd
    .uniform_work_group_size: 1
    .uses_dynamic_stack: false
    .vgpr_count:     11
    .vgpr_spill_count: 0
    .wavefront_size: 32
  - .args:
      - .address_space:  global
        .offset:         0
        .size:           8
        .value_kind:     global_buffer
      - .address_space:  global
        .offset:         8
        .size:           8
        .value_kind:     global_buffer
      - .offset:         16
        .size:           4
        .value_kind:     by_value
      - .offset:         24
        .size:           8
        .value_kind:     by_value
      - .offset:         32
        .size:           8
        .value_kind:     by_value
      - .offset:         40
        .size:           8
        .value_kind:     by_value
      - .offset:         48
        .size:           4
        .value_kind:     by_value
      - .address_space:  global
        .offset:         56
        .size:           8
        .value_kind:     global_buffer
      - .offset:         64
        .size:           8
        .value_kind:     by_value
      - .offset:         72
        .size:           8
        .value_kind:     by_value
      - .offset:         80
        .size:           8
        .value_kind:     by_value
      - .offset:         88
        .size:           12
        .value_kind:     by_value
      - .offset:         100
        .size:           12
        .value_kind:     by_value
      - .offset:         112
        .size:           12
        .value_kind:     by_value
      - .offset:         124
        .size:           12
        .value_kind:     by_value
      - .address_space:  global
        .offset:         136
        .size:           8
        .value_kind:     global_buffer
      - .offset:         144
        .size:           8
        .value_kind:     by_value
      - .offset:         152
        .size:           8
        .value_kind:     by_value
      - .offset:         160
        .size:           8
        .value_kind:     by_value
      - .offset:         168
        .size:           12
        .value_kind:     by_value
      - .offset:         180
        .size:           12
        .value_kind:     by_value
      - .offset:         192
        .size:           12
        .value_kind:     by_value
      - .offset:         204
        .size:           12
        .value_kind:     by_value
      - .offset:         216
        .size:           4
        .value_kind:     hidden_block_count_x
      - .offset:         220
        .size:           4
        .value_kind:     hidden_block_count_y
      - .offset:         224
        .size:           4
        .value_kind:     hidden_block_count_z
      - .offset:         228
        .size:           2
        .value_kind:     hidden_group_size_x
      - .offset:         230
        .size:           2
        .value_kind:     hidden_group_size_y
      - .offset:         232
        .size:           2
        .value_kind:     hidden_group_size_z
      - .offset:         234
        .size:           2
        .value_kind:     hidden_remainder_x
      - .offset:         236
        .size:           2
        .value_kind:     hidden_remainder_y
      - .offset:         238
        .size:           2
        .value_kind:     hidden_remainder_z
      - .offset:         256
        .size:           8
        .value_kind:     hidden_global_offset_x
      - .offset:         264
        .size:           8
        .value_kind:     hidden_global_offset_y
      - .offset:         272
        .size:           8
        .value_kind:     hidden_global_offset_z
      - .offset:         280
        .size:           2
        .value_kind:     hidden_grid_dims
      - .offset:         336
        .size:           4
        .value_kind:     hidden_dynamic_lds_size
    .group_segment_fixed_size: 0
    .kernarg_segment_align: 8
    .kernarg_segment_size: 472
    .language:       OpenCL C
    .language_version:
      - 2
      - 0
    .max_flat_workgroup_size: 1024
    .name:           _ZL12rms_norm_f32ILi256ELb1ELb1EEvPKfPfilllfS1_lll15HIP_vector_typeIjLj3EES4_S4_S4_S1_lllS4_S4_S4_S4_
    .private_segment_fixed_size: 0
    .sgpr_count:     66
    .sgpr_spill_count: 0
    .symbol:         _ZL12rms_norm_f32ILi256ELb1ELb1EEvPKfPfilllfS1_lll15HIP_vector_typeIjLj3EES4_S4_S4_S1_lllS4_S4_S4_S4_.kd
    .uniform_work_group_size: 1
    .uses_dynamic_stack: false
    .vgpr_count:     15
    .vgpr_spill_count: 0
    .wavefront_size: 32
  - .args:
      - .address_space:  global
        .offset:         0
        .size:           8
        .value_kind:     global_buffer
      - .address_space:  global
        .offset:         8
        .size:           8
        .value_kind:     global_buffer
      - .offset:         16
        .size:           4
        .value_kind:     by_value
      - .offset:         24
        .size:           8
        .value_kind:     by_value
      - .offset:         32
        .size:           8
        .value_kind:     by_value
      - .offset:         40
        .size:           8
        .value_kind:     by_value
      - .offset:         48
        .size:           4
        .value_kind:     by_value
      - .address_space:  global
        .offset:         56
        .size:           8
        .value_kind:     global_buffer
      - .offset:         64
        .size:           8
        .value_kind:     by_value
      - .offset:         72
        .size:           8
        .value_kind:     by_value
      - .offset:         80
        .size:           8
        .value_kind:     by_value
      - .offset:         88
        .size:           12
        .value_kind:     by_value
      - .offset:         100
        .size:           12
        .value_kind:     by_value
      - .offset:         112
        .size:           12
        .value_kind:     by_value
      - .offset:         124
        .size:           12
        .value_kind:     by_value
      - .address_space:  global
        .offset:         136
        .size:           8
        .value_kind:     global_buffer
      - .offset:         144
        .size:           8
        .value_kind:     by_value
      - .offset:         152
        .size:           8
        .value_kind:     by_value
      - .offset:         160
        .size:           8
        .value_kind:     by_value
      - .offset:         168
        .size:           12
        .value_kind:     by_value
      - .offset:         180
        .size:           12
        .value_kind:     by_value
      - .offset:         192
        .size:           12
        .value_kind:     by_value
      - .offset:         204
        .size:           12
        .value_kind:     by_value
      - .offset:         216
        .size:           4
        .value_kind:     hidden_block_count_x
      - .offset:         220
        .size:           4
        .value_kind:     hidden_block_count_y
      - .offset:         224
        .size:           4
        .value_kind:     hidden_block_count_z
      - .offset:         228
        .size:           2
        .value_kind:     hidden_group_size_x
      - .offset:         230
        .size:           2
        .value_kind:     hidden_group_size_y
      - .offset:         232
        .size:           2
        .value_kind:     hidden_group_size_z
      - .offset:         234
        .size:           2
        .value_kind:     hidden_remainder_x
      - .offset:         236
        .size:           2
        .value_kind:     hidden_remainder_y
      - .offset:         238
        .size:           2
        .value_kind:     hidden_remainder_z
      - .offset:         256
        .size:           8
        .value_kind:     hidden_global_offset_x
      - .offset:         264
        .size:           8
        .value_kind:     hidden_global_offset_y
      - .offset:         272
        .size:           8
        .value_kind:     hidden_global_offset_z
      - .offset:         280
        .size:           2
        .value_kind:     hidden_grid_dims
      - .offset:         336
        .size:           4
        .value_kind:     hidden_dynamic_lds_size
    .group_segment_fixed_size: 0
    .kernarg_segment_align: 8
    .kernarg_segment_size: 472
    .language:       OpenCL C
    .language_version:
      - 2
      - 0
    .max_flat_workgroup_size: 1024
    .name:           _ZL12rms_norm_f32ILi1024ELb1ELb1EEvPKfPfilllfS1_lll15HIP_vector_typeIjLj3EES4_S4_S4_S1_lllS4_S4_S4_S4_
    .private_segment_fixed_size: 0
    .sgpr_count:     66
    .sgpr_spill_count: 0
    .symbol:         _ZL12rms_norm_f32ILi1024ELb1ELb1EEvPKfPfilllfS1_lll15HIP_vector_typeIjLj3EES4_S4_S4_S1_lllS4_S4_S4_S4_.kd
    .uniform_work_group_size: 1
    .uses_dynamic_stack: false
    .vgpr_count:     15
    .vgpr_spill_count: 0
    .wavefront_size: 32
  - .args:
      - .address_space:  global
        .offset:         0
        .size:           8
        .value_kind:     global_buffer
      - .address_space:  global
        .offset:         8
        .size:           8
        .value_kind:     global_buffer
      - .address_space:  global
        .offset:         16
        .size:           8
        .value_kind:     global_buffer
      - .offset:         24
        .size:           4
        .value_kind:     by_value
      - .offset:         28
        .size:           4
        .value_kind:     by_value
      - .offset:         32
        .size:           4
        .value_kind:     hidden_block_count_x
      - .offset:         36
        .size:           4
        .value_kind:     hidden_block_count_y
      - .offset:         40
        .size:           4
        .value_kind:     hidden_block_count_z
      - .offset:         44
        .size:           2
        .value_kind:     hidden_group_size_x
      - .offset:         46
        .size:           2
        .value_kind:     hidden_group_size_y
      - .offset:         48
        .size:           2
        .value_kind:     hidden_group_size_z
      - .offset:         50
        .size:           2
        .value_kind:     hidden_remainder_x
      - .offset:         52
        .size:           2
        .value_kind:     hidden_remainder_y
      - .offset:         54
        .size:           2
        .value_kind:     hidden_remainder_z
      - .offset:         72
        .size:           8
        .value_kind:     hidden_global_offset_x
      - .offset:         80
        .size:           8
        .value_kind:     hidden_global_offset_y
      - .offset:         88
        .size:           8
        .value_kind:     hidden_global_offset_z
      - .offset:         96
        .size:           2
        .value_kind:     hidden_grid_dims
    .group_segment_fixed_size: 0
    .kernarg_segment_align: 8
    .kernarg_segment_size: 288
    .language:       OpenCL C
    .language_version:
      - 2
      - 0
    .max_flat_workgroup_size: 1024
    .name:           _ZL17rms_norm_back_f32ILi32EEvPKfS1_Pfif
    .private_segment_fixed_size: 0
    .sgpr_count:     15
    .sgpr_spill_count: 0
    .symbol:         _ZL17rms_norm_back_f32ILi32EEvPKfS1_Pfif.kd
    .uniform_work_group_size: 1
    .uses_dynamic_stack: false
    .vgpr_count:     16
    .vgpr_spill_count: 0
    .wavefront_size: 32
  - .args:
      - .address_space:  global
        .offset:         0
        .size:           8
        .value_kind:     global_buffer
      - .address_space:  global
        .offset:         8
        .size:           8
        .value_kind:     global_buffer
      - .address_space:  global
        .offset:         16
        .size:           8
        .value_kind:     global_buffer
      - .offset:         24
        .size:           4
        .value_kind:     by_value
      - .offset:         28
        .size:           4
        .value_kind:     by_value
      - .offset:         32
        .size:           4
        .value_kind:     hidden_block_count_x
      - .offset:         36
        .size:           4
        .value_kind:     hidden_block_count_y
      - .offset:         40
        .size:           4
        .value_kind:     hidden_block_count_z
      - .offset:         44
        .size:           2
        .value_kind:     hidden_group_size_x
      - .offset:         46
        .size:           2
        .value_kind:     hidden_group_size_y
      - .offset:         48
        .size:           2
        .value_kind:     hidden_group_size_z
      - .offset:         50
        .size:           2
        .value_kind:     hidden_remainder_x
      - .offset:         52
        .size:           2
        .value_kind:     hidden_remainder_y
      - .offset:         54
        .size:           2
        .value_kind:     hidden_remainder_z
      - .offset:         72
        .size:           8
        .value_kind:     hidden_global_offset_x
      - .offset:         80
        .size:           8
        .value_kind:     hidden_global_offset_y
      - .offset:         88
        .size:           8
        .value_kind:     hidden_global_offset_z
      - .offset:         96
        .size:           2
        .value_kind:     hidden_grid_dims
    .group_segment_fixed_size: 256
    .kernarg_segment_align: 8
    .kernarg_segment_size: 288
    .language:       OpenCL C
    .language_version:
      - 2
      - 0
    .max_flat_workgroup_size: 1024
    .name:           _ZL17rms_norm_back_f32ILi1024EEvPKfS1_Pfif
    .private_segment_fixed_size: 0
    .sgpr_count:     15
    .sgpr_spill_count: 0
    .symbol:         _ZL17rms_norm_back_f32ILi1024EEvPKfS1_Pfif.kd
    .uniform_work_group_size: 1
    .uses_dynamic_stack: false
    .vgpr_count:     16
    .vgpr_spill_count: 0
    .wavefront_size: 32
  - .args:
      - .address_space:  global
        .offset:         0
        .size:           8
        .value_kind:     global_buffer
      - .address_space:  global
        .offset:         8
        .size:           8
        .value_kind:     global_buffer
      - .offset:         16
        .size:           4
        .value_kind:     by_value
      - .offset:         24
        .size:           8
        .value_kind:     by_value
      - .offset:         32
        .size:           8
        .value_kind:     by_value
      - .offset:         40
        .size:           8
        .value_kind:     by_value
      - .offset:         48
        .size:           4
        .value_kind:     by_value
      - .offset:         56
        .size:           4
        .value_kind:     hidden_block_count_x
      - .offset:         60
        .size:           4
        .value_kind:     hidden_block_count_y
      - .offset:         64
        .size:           4
        .value_kind:     hidden_block_count_z
      - .offset:         68
        .size:           2
        .value_kind:     hidden_group_size_x
      - .offset:         70
        .size:           2
        .value_kind:     hidden_group_size_y
      - .offset:         72
        .size:           2
        .value_kind:     hidden_group_size_z
      - .offset:         74
        .size:           2
        .value_kind:     hidden_remainder_x
      - .offset:         76
        .size:           2
        .value_kind:     hidden_remainder_y
      - .offset:         78
        .size:           2
        .value_kind:     hidden_remainder_z
      - .offset:         96
        .size:           8
        .value_kind:     hidden_global_offset_x
      - .offset:         104
        .size:           8
        .value_kind:     hidden_global_offset_y
      - .offset:         112
        .size:           8
        .value_kind:     hidden_global_offset_z
      - .offset:         120
        .size:           2
        .value_kind:     hidden_grid_dims
    .group_segment_fixed_size: 0
    .kernarg_segment_align: 8
    .kernarg_segment_size: 312
    .language:       OpenCL C
    .language_version:
      - 2
      - 0
    .max_flat_workgroup_size: 1024
    .name:           _ZL11l2_norm_f32ILi32EEvPKfPfilllf
    .private_segment_fixed_size: 0
    .sgpr_count:     28
    .sgpr_spill_count: 0
    .symbol:         _ZL11l2_norm_f32ILi32EEvPKfPfilllf.kd
    .uniform_work_group_size: 1
    .uses_dynamic_stack: false
    .vgpr_count:     7
    .vgpr_spill_count: 0
    .wavefront_size: 32
  - .args:
      - .address_space:  global
        .offset:         0
        .size:           8
        .value_kind:     global_buffer
      - .address_space:  global
        .offset:         8
        .size:           8
        .value_kind:     global_buffer
      - .offset:         16
        .size:           4
        .value_kind:     by_value
      - .offset:         24
        .size:           8
        .value_kind:     by_value
      - .offset:         32
        .size:           8
        .value_kind:     by_value
      - .offset:         40
        .size:           8
        .value_kind:     by_value
      - .offset:         48
        .size:           4
        .value_kind:     by_value
      - .offset:         56
        .size:           4
        .value_kind:     hidden_block_count_x
      - .offset:         60
        .size:           4
        .value_kind:     hidden_block_count_y
      - .offset:         64
        .size:           4
        .value_kind:     hidden_block_count_z
      - .offset:         68
        .size:           2
        .value_kind:     hidden_group_size_x
      - .offset:         70
        .size:           2
        .value_kind:     hidden_group_size_y
      - .offset:         72
        .size:           2
        .value_kind:     hidden_group_size_z
      - .offset:         74
        .size:           2
        .value_kind:     hidden_remainder_x
      - .offset:         76
        .size:           2
        .value_kind:     hidden_remainder_y
      - .offset:         78
        .size:           2
        .value_kind:     hidden_remainder_z
      - .offset:         96
        .size:           8
        .value_kind:     hidden_global_offset_x
      - .offset:         104
        .size:           8
        .value_kind:     hidden_global_offset_y
      - .offset:         112
        .size:           8
        .value_kind:     hidden_global_offset_z
      - .offset:         120
        .size:           2
        .value_kind:     hidden_grid_dims
      - .offset:         176
        .size:           4
        .value_kind:     hidden_dynamic_lds_size
    .group_segment_fixed_size: 0
    .kernarg_segment_align: 8
    .kernarg_segment_size: 312
    .language:       OpenCL C
    .language_version:
      - 2
      - 0
    .max_flat_workgroup_size: 1024
    .name:           _ZL11l2_norm_f32ILi1024EEvPKfPfilllf
    .private_segment_fixed_size: 0
    .sgpr_count:     28
    .sgpr_spill_count: 0
    .symbol:         _ZL11l2_norm_f32ILi1024EEvPKfPfilllf.kd
    .uniform_work_group_size: 1
    .uses_dynamic_stack: false
    .vgpr_count:     11
    .vgpr_spill_count: 0
    .wavefront_size: 32
amdhsa.target:   amdgcn-amd-amdhsa--gfx1250
amdhsa.version:
  - 1
  - 2
...

	.end_amdgpu_metadata
